;; amdgpu-corpus repo=ROCm/rocFFT kind=compiled arch=gfx1100 opt=O3
	.text
	.amdgcn_target "amdgcn-amd-amdhsa--gfx1100"
	.amdhsa_code_object_version 6
	.protected	bluestein_single_fwd_len867_dim1_dp_op_CI_CI ; -- Begin function bluestein_single_fwd_len867_dim1_dp_op_CI_CI
	.globl	bluestein_single_fwd_len867_dim1_dp_op_CI_CI
	.p2align	8
	.type	bluestein_single_fwd_len867_dim1_dp_op_CI_CI,@function
bluestein_single_fwd_len867_dim1_dp_op_CI_CI: ; @bluestein_single_fwd_len867_dim1_dp_op_CI_CI
; %bb.0:
	s_load_b128 s[16:19], s[0:1], 0x28
	v_mul_u32_u24_e32 v1, 0x506, v0
	s_mov_b32 s2, exec_lo
	v_mov_b32_e32 v5, 0
	s_delay_alu instid0(VALU_DEP_2) | instskip(NEXT) | instid1(VALU_DEP_1)
	v_lshrrev_b32_e32 v1, 16, v1
	v_add_nc_u32_e32 v4, s15, v1
	s_waitcnt lgkmcnt(0)
	s_delay_alu instid0(VALU_DEP_1)
	v_cmpx_gt_u64_e64 s[16:17], v[4:5]
	s_cbranch_execz .LBB0_10
; %bb.1:
	s_clause 0x2
	s_load_b128 s[8:11], s[0:1], 0x0
	s_load_b128 s[20:23], s[0:1], 0x18
	s_load_b64 s[12:13], s[0:1], 0x38
	v_mul_lo_u16 v1, v1, 51
	s_mov_b32 s42, 0x5d8e7cdc
	s_mov_b32 s46, 0x2a9d6da3
	;; [unrolled: 1-line block ×4, first 2 shown]
	v_sub_nc_u16 v60, v0, v1
	s_mov_b32 s14, 0x923c349f
	s_mov_b32 s30, 0x4363dd80
	;; [unrolled: 1-line block ×4, first 2 shown]
	v_and_b32_e32 v6, 0xffff, v60
	v_mov_b32_e32 v2, v4
	s_mov_b32 s47, 0xbfe58eea
	s_mov_b32 s53, 0xbfeca52d
	;; [unrolled: 1-line block ×6, first 2 shown]
	s_waitcnt lgkmcnt(0)
	s_load_b128 s[4:7], s[22:23], 0x0
	s_load_b128 s[0:3], s[20:21], 0x0
	scratch_store_b64 off, v[2:3], off offset:20 ; 8-byte Folded Spill
	s_mov_b32 s22, 0x6c9a05f6
	s_mov_b32 s23, 0xbfe9895b
	;; [unrolled: 1-line block ×18, first 2 shown]
	s_waitcnt lgkmcnt(0)
	v_mad_u64_u32 v[0:1], null, s2, v4, 0
	s_mov_b32 s37, 0x3fd71e95
	s_mov_b32 s36, s42
	s_mov_b32 s57, 0x3fc7851a
	s_mov_b32 s56, s40
	s_mov_b32 s29, 0x3fe58eea
	s_mov_b32 s28, s46
	s_delay_alu instid0(VALU_DEP_1) | instskip(SKIP_2) | instid1(VALU_DEP_1)
	v_mad_u64_u32 v[2:3], null, s3, v4, v[1:2]
	s_mov_b32 s49, 0x3fe9895b
	s_mov_b32 s48, s22
                                        ; implicit-def: $vgpr208_vgpr209
	v_mov_b32_e32 v1, v2
	scratch_store_b32 off, v6, off          ; 4-byte Folded Spill
	v_mad_u64_u32 v[2:3], null, s0, v6, 0
	v_lshlrev_b32_e32 v255, 4, v6
	v_lshlrev_b64 v[0:1], 4, v[0:1]
	global_load_b128 v[10:13], v255, s[8:9]
	v_mad_u64_u32 v[4:5], null, s1, v6, v[3:4]
	v_add_co_u32 v58, s2, s8, v255
	s_delay_alu instid0(VALU_DEP_1) | instskip(SKIP_2) | instid1(VALU_DEP_3)
	v_add_co_ci_u32_e64 v59, null, s9, 0, s2
	s_mulk_i32 s1, 0x330
	s_mul_hi_u32 s2, s0, 0x330
	v_mov_b32_e32 v3, v4
	v_add_co_u32 v4, vcc_lo, s18, v0
	v_add_co_ci_u32_e32 v5, vcc_lo, s19, v1, vcc_lo
	s_delay_alu instid0(VALU_DEP_3)
	v_lshlrev_b64 v[0:1], 4, v[2:3]
	s_mulk_i32 s0, 0x330
	s_add_i32 s1, s2, s1
	s_mov_b32 s2, 0xc61f0d01
	s_mov_b32 s3, 0xbfd183b1
	;; [unrolled: 1-line block ×3, first 2 shown]
	v_add_co_u32 v8, vcc_lo, v4, v0
	v_add_co_ci_u32_e32 v9, vcc_lo, v5, v1, vcc_lo
	s_mov_b32 s18, s52
	global_load_b128 v[0:3], v[8:9], off
	v_add_co_u32 v8, vcc_lo, v8, s0
	v_add_co_ci_u32_e32 v9, vcc_lo, s1, v9, vcc_lo
	s_waitcnt vmcnt(1)
	scratch_store_b128 off, v[10:13], off offset:28 ; 16-byte Folded Spill
	s_waitcnt vmcnt(0)
	v_mul_f64 v[4:5], v[2:3], v[12:13]
	s_delay_alu instid0(VALU_DEP_1) | instskip(SKIP_1) | instid1(VALU_DEP_1)
	v_fma_f64 v[4:5], v[0:1], v[10:11], v[4:5]
	v_mul_f64 v[0:1], v[0:1], v[12:13]
	v_fma_f64 v[6:7], v[2:3], v[10:11], -v[0:1]
	ds_store_b128 v255, v[4:7]
	global_load_b128 v[0:3], v[8:9], off
	global_load_b128 v[10:13], v255, s[8:9] offset:816
	v_add_co_u32 v8, vcc_lo, v8, s0
	v_add_co_ci_u32_e32 v9, vcc_lo, s1, v9, vcc_lo
	s_waitcnt vmcnt(0)
	v_mul_f64 v[4:5], v[2:3], v[12:13]
	scratch_store_b128 off, v[10:13], off offset:44 ; 16-byte Folded Spill
	v_fma_f64 v[4:5], v[0:1], v[10:11], v[4:5]
	v_mul_f64 v[0:1], v[0:1], v[12:13]
	s_delay_alu instid0(VALU_DEP_1)
	v_fma_f64 v[6:7], v[2:3], v[10:11], -v[0:1]
	ds_store_b128 v255, v[4:7] offset:816
	global_load_b128 v[0:3], v[8:9], off
	global_load_b128 v[10:13], v255, s[8:9] offset:1632
	v_add_co_u32 v8, vcc_lo, v8, s0
	v_add_co_ci_u32_e32 v9, vcc_lo, s1, v9, vcc_lo
	s_waitcnt vmcnt(0)
	v_mul_f64 v[4:5], v[2:3], v[12:13]
	scratch_store_b128 off, v[10:13], off offset:60 ; 16-byte Folded Spill
	v_fma_f64 v[4:5], v[0:1], v[10:11], v[4:5]
	v_mul_f64 v[0:1], v[0:1], v[12:13]
	s_delay_alu instid0(VALU_DEP_1)
	v_fma_f64 v[6:7], v[2:3], v[10:11], -v[0:1]
	ds_store_b128 v255, v[4:7] offset:1632
	;; [unrolled: 12-line block ×4, first 2 shown]
	global_load_b128 v[0:3], v[8:9], off
	global_load_b128 v[10:13], v255, s[8:9] offset:4080
	v_add_co_u32 v8, vcc_lo, v8, s0
	v_add_co_ci_u32_e32 v9, vcc_lo, s1, v9, vcc_lo
	s_mov_b32 s9, 0x3fefdd0d
	s_mov_b32 s8, s44
	s_waitcnt vmcnt(0)
	v_mul_f64 v[4:5], v[2:3], v[12:13]
	scratch_store_b128 off, v[10:13], off offset:108 ; 16-byte Folded Spill
	v_fma_f64 v[4:5], v[0:1], v[10:11], v[4:5]
	v_mul_f64 v[0:1], v[0:1], v[12:13]
	s_delay_alu instid0(VALU_DEP_1)
	v_fma_f64 v[6:7], v[2:3], v[10:11], -v[0:1]
	v_add_co_u32 v10, vcc_lo, 0x1000, v58
	v_add_co_ci_u32_e32 v11, vcc_lo, 0, v59, vcc_lo
	global_load_b128 v[0:3], v[8:9], off
	v_add_co_u32 v8, vcc_lo, v8, s0
	global_load_b128 v[12:15], v[10:11], off offset:800
	v_add_co_ci_u32_e32 v9, vcc_lo, s1, v9, vcc_lo
	ds_store_b128 v255, v[4:7] offset:4080
	s_waitcnt vmcnt(0)
	v_mul_f64 v[4:5], v[2:3], v[14:15]
	scratch_store_b128 off, v[12:15], off offset:124 ; 16-byte Folded Spill
	v_fma_f64 v[4:5], v[0:1], v[12:13], v[4:5]
	v_mul_f64 v[0:1], v[0:1], v[14:15]
	s_delay_alu instid0(VALU_DEP_1)
	v_fma_f64 v[6:7], v[2:3], v[12:13], -v[0:1]
	ds_store_b128 v255, v[4:7] offset:4896
	global_load_b128 v[0:3], v[8:9], off
	global_load_b128 v[12:15], v[10:11], off offset:1616
	v_add_co_u32 v8, vcc_lo, v8, s0
	v_add_co_ci_u32_e32 v9, vcc_lo, s1, v9, vcc_lo
	s_waitcnt vmcnt(0)
	v_mul_f64 v[4:5], v[2:3], v[14:15]
	scratch_store_b128 off, v[12:15], off offset:140 ; 16-byte Folded Spill
	v_fma_f64 v[4:5], v[0:1], v[12:13], v[4:5]
	v_mul_f64 v[0:1], v[0:1], v[14:15]
	s_delay_alu instid0(VALU_DEP_1)
	v_fma_f64 v[6:7], v[2:3], v[12:13], -v[0:1]
	ds_store_b128 v255, v[4:7] offset:5712
	global_load_b128 v[0:3], v[8:9], off
	global_load_b128 v[12:15], v[10:11], off offset:2432
	v_add_co_u32 v8, vcc_lo, v8, s0
	v_add_co_ci_u32_e32 v9, vcc_lo, s1, v9, vcc_lo
	;; [unrolled: 12-line block ×4, first 2 shown]
	s_waitcnt vmcnt(0)
	v_mul_f64 v[4:5], v[2:3], v[12:13]
	scratch_store_b128 off, v[10:13], off offset:188 ; 16-byte Folded Spill
	v_fma_f64 v[4:5], v[0:1], v[10:11], v[4:5]
	v_mul_f64 v[0:1], v[0:1], v[12:13]
	s_delay_alu instid0(VALU_DEP_1)
	v_fma_f64 v[6:7], v[2:3], v[10:11], -v[0:1]
	v_add_co_u32 v10, vcc_lo, 0x2000, v58
	v_add_co_ci_u32_e32 v11, vcc_lo, 0, v59, vcc_lo
	global_load_b128 v[0:3], v[8:9], off
	v_add_co_u32 v8, vcc_lo, v8, s0
	global_load_b128 v[12:15], v[10:11], off offset:784
	v_add_co_ci_u32_e32 v9, vcc_lo, s1, v9, vcc_lo
	ds_store_b128 v255, v[4:7] offset:8160
	s_waitcnt vmcnt(0)
	v_mul_f64 v[4:5], v[2:3], v[14:15]
	scratch_store_b128 off, v[12:15], off offset:204 ; 16-byte Folded Spill
	v_fma_f64 v[4:5], v[0:1], v[12:13], v[4:5]
	v_mul_f64 v[0:1], v[0:1], v[14:15]
	s_delay_alu instid0(VALU_DEP_1)
	v_fma_f64 v[6:7], v[2:3], v[12:13], -v[0:1]
	ds_store_b128 v255, v[4:7] offset:8976
	global_load_b128 v[0:3], v[8:9], off
	global_load_b128 v[12:15], v[10:11], off offset:1600
	v_add_co_u32 v8, vcc_lo, v8, s0
	v_add_co_ci_u32_e32 v9, vcc_lo, s1, v9, vcc_lo
	s_waitcnt vmcnt(0)
	v_mul_f64 v[4:5], v[2:3], v[14:15]
	scratch_store_b128 off, v[12:15], off offset:220 ; 16-byte Folded Spill
	v_fma_f64 v[4:5], v[0:1], v[12:13], v[4:5]
	v_mul_f64 v[0:1], v[0:1], v[14:15]
	s_delay_alu instid0(VALU_DEP_1)
	v_fma_f64 v[6:7], v[2:3], v[12:13], -v[0:1]
	ds_store_b128 v255, v[4:7] offset:9792
	global_load_b128 v[0:3], v[8:9], off
	global_load_b128 v[12:15], v[10:11], off offset:2416
	v_add_co_u32 v8, vcc_lo, v8, s0
	v_add_co_ci_u32_e32 v9, vcc_lo, s1, v9, vcc_lo
	;; [unrolled: 12-line block ×3, first 2 shown]
	s_waitcnt vmcnt(0)
	v_mul_f64 v[4:5], v[2:3], v[14:15]
	scratch_store_b128 off, v[12:15], off offset:252 ; 16-byte Folded Spill
	v_fma_f64 v[4:5], v[0:1], v[12:13], v[4:5]
	v_mul_f64 v[0:1], v[0:1], v[14:15]
	s_delay_alu instid0(VALU_DEP_1)
	v_fma_f64 v[6:7], v[2:3], v[12:13], -v[0:1]
	ds_store_b128 v255, v[4:7] offset:11424
	global_load_b128 v[0:3], v[8:9], off
	global_load_b128 v[10:13], v[10:11], off offset:4048
	s_waitcnt vmcnt(0)
	v_mul_f64 v[4:5], v[2:3], v[12:13]
	s_delay_alu instid0(VALU_DEP_1) | instskip(SKIP_1) | instid1(VALU_DEP_1)
	v_fma_f64 v[4:5], v[0:1], v[10:11], v[4:5]
	v_mul_f64 v[0:1], v[0:1], v[12:13]
	v_fma_f64 v[6:7], v[2:3], v[10:11], -v[0:1]
	v_add_co_u32 v0, vcc_lo, v8, s0
	v_add_co_ci_u32_e32 v1, vcc_lo, s1, v9, vcc_lo
	v_add_co_u32 v212, vcc_lo, 0x3000, v58
	v_add_co_ci_u32_e32 v213, vcc_lo, 0, v59, vcc_lo
	global_load_b128 v[0:3], v[0:1], off
	s_mov_b32 s0, 0x3259b75e
	s_mov_b32 s1, 0x3fb79ee6
	v_cmp_gt_u16_e32 vcc_lo, 34, v60
	ds_store_b128 v255, v[4:7] offset:12240
	global_load_b128 v[6:9], v[212:213], off offset:768
	scratch_store_b128 off, v[10:13], off offset:268 ; 16-byte Folded Spill
	s_waitcnt vmcnt(0)
	scratch_store_b128 off, v[6:9], off offset:284 ; 16-byte Folded Spill
	v_mul_f64 v[4:5], v[2:3], v[8:9]
	s_delay_alu instid0(VALU_DEP_1) | instskip(SKIP_1) | instid1(VALU_DEP_1)
	v_fma_f64 v[4:5], v[0:1], v[6:7], v[4:5]
	v_mul_f64 v[0:1], v[0:1], v[8:9]
	v_fma_f64 v[6:7], v[2:3], v[6:7], -v[0:1]
	ds_store_b128 v255, v[4:7] offset:13056
	s_waitcnt lgkmcnt(0)
	s_waitcnt_vscnt null, 0x0
	s_barrier
	buffer_gl0_inv
	ds_load_b128 v[0:3], v255
	ds_load_b128 v[4:7], v255 offset:816
	ds_load_b128 v[8:11], v255 offset:1632
	;; [unrolled: 1-line block ×16, first 2 shown]
	s_waitcnt lgkmcnt(0)
	s_barrier
	buffer_gl0_inv
	v_add_f64 v[30:31], v[2:3], v[6:7]
	v_add_f64 v[28:29], v[0:1], v[4:5]
	s_delay_alu instid0(VALU_DEP_2) | instskip(NEXT) | instid1(VALU_DEP_2)
	v_add_f64 v[30:31], v[30:31], v[10:11]
	v_add_f64 v[28:29], v[28:29], v[8:9]
	s_delay_alu instid0(VALU_DEP_2) | instskip(NEXT) | instid1(VALU_DEP_2)
	;; [unrolled: 3-line block ×14, first 2 shown]
	v_add_f64 v[30:31], v[30:31], v[22:23]
	v_add_f64 v[28:29], v[28:29], v[20:21]
	s_delay_alu instid0(VALU_DEP_2) | instskip(SKIP_2) | instid1(VALU_DEP_4)
	v_add_f64 v[70:71], v[30:31], v[26:27]
	v_add_f64 v[30:31], v[6:7], v[26:27]
	v_add_f64 v[6:7], v[6:7], -v[26:27]
	v_add_f64 v[68:69], v[28:29], v[24:25]
	v_add_f64 v[28:29], v[4:5], v[24:25]
	v_add_f64 v[4:5], v[4:5], -v[24:25]
	s_delay_alu instid0(VALU_DEP_4)
	v_mul_f64 v[24:25], v[6:7], s[42:43]
	v_mul_f64 v[36:37], v[6:7], s[46:47]
	;; [unrolled: 1-line block ×16, first 2 shown]
	v_fma_f64 v[26:27], v[28:29], s[34:35], -v[24:25]
	v_fma_f64 v[24:25], v[28:29], s[34:35], v[24:25]
	v_fma_f64 v[38:39], v[28:29], s[24:25], -v[36:37]
	v_fma_f64 v[36:37], v[28:29], s[24:25], v[36:37]
	;; [unrolled: 2-line block ×8, first 2 shown]
	v_fma_f64 v[34:35], v[30:31], s[34:35], v[32:33]
	v_fma_f64 v[32:33], v[30:31], s[34:35], -v[32:33]
	v_fma_f64 v[42:43], v[30:31], s[24:25], v[40:41]
	v_fma_f64 v[40:41], v[30:31], s[24:25], -v[40:41]
	;; [unrolled: 2-line block ×8, first 2 shown]
	v_add_f64 v[26:27], v[0:1], v[26:27]
	v_add_f64 v[24:25], v[0:1], v[24:25]
	;; [unrolled: 1-line block ×17, first 2 shown]
	v_add_f64 v[10:11], v[10:11], -v[22:23]
	v_add_f64 v[34:35], v[2:3], v[34:35]
	v_add_f64 v[32:33], v[2:3], v[32:33]
	;; [unrolled: 1-line block ×17, first 2 shown]
	v_add_f64 v[8:9], v[8:9], -v[20:21]
	v_mul_f64 v[20:21], v[10:11], s[46:47]
	s_delay_alu instid0(VALU_DEP_1) | instskip(SKIP_1) | instid1(VALU_DEP_2)
	v_fma_f64 v[22:23], v[4:5], s[24:25], -v[20:21]
	v_fma_f64 v[20:21], v[4:5], s[24:25], v[20:21]
	v_add_f64 v[22:23], v[22:23], v[26:27]
	v_mul_f64 v[26:27], v[8:9], s[46:47]
	s_delay_alu instid0(VALU_DEP_3) | instskip(NEXT) | instid1(VALU_DEP_2)
	v_add_f64 v[20:21], v[20:21], v[24:25]
	v_fma_f64 v[28:29], v[6:7], s[24:25], v[26:27]
	v_fma_f64 v[24:25], v[6:7], s[24:25], -v[26:27]
	v_mul_f64 v[26:27], v[10:11], s[44:45]
	s_delay_alu instid0(VALU_DEP_3) | instskip(NEXT) | instid1(VALU_DEP_3)
	v_add_f64 v[28:29], v[28:29], v[34:35]
	v_add_f64 v[24:25], v[24:25], v[32:33]
	s_delay_alu instid0(VALU_DEP_3) | instskip(SKIP_2) | instid1(VALU_DEP_3)
	v_fma_f64 v[30:31], v[4:5], s[0:1], -v[26:27]
	v_fma_f64 v[26:27], v[4:5], s[0:1], v[26:27]
	v_mul_f64 v[32:33], v[8:9], s[44:45]
	v_add_f64 v[30:31], v[30:31], v[38:39]
	s_delay_alu instid0(VALU_DEP_3) | instskip(SKIP_1) | instid1(VALU_DEP_4)
	v_add_f64 v[26:27], v[26:27], v[36:37]
	v_mul_f64 v[36:37], v[10:11], s[22:23]
	v_fma_f64 v[34:35], v[6:7], s[0:1], v[32:33]
	v_fma_f64 v[32:33], v[6:7], s[0:1], -v[32:33]
	s_delay_alu instid0(VALU_DEP_3) | instskip(SKIP_1) | instid1(VALU_DEP_3)
	v_fma_f64 v[38:39], v[4:5], s[20:21], -v[36:37]
	v_fma_f64 v[36:37], v[4:5], s[20:21], v[36:37]
	v_add_f64 v[32:33], v[32:33], v[40:41]
	v_mul_f64 v[40:41], v[8:9], s[22:23]
	v_add_f64 v[34:35], v[34:35], v[42:43]
	v_add_f64 v[38:39], v[38:39], v[46:47]
	v_add_f64 v[36:37], v[36:37], v[44:45]
	v_mul_f64 v[44:45], v[10:11], s[40:41]
	v_fma_f64 v[42:43], v[6:7], s[20:21], v[40:41]
	v_fma_f64 v[40:41], v[6:7], s[20:21], -v[40:41]
	s_delay_alu instid0(VALU_DEP_3) | instskip(SKIP_1) | instid1(VALU_DEP_3)
	v_fma_f64 v[46:47], v[4:5], s[38:39], -v[44:45]
	v_fma_f64 v[44:45], v[4:5], s[38:39], v[44:45]
	v_add_f64 v[40:41], v[40:41], v[48:49]
	v_mul_f64 v[48:49], v[8:9], s[40:41]
	v_add_f64 v[42:43], v[42:43], v[50:51]
	v_add_f64 v[46:47], v[46:47], v[54:55]
	;; [unrolled: 11-line block ×4, first 2 shown]
	v_add_f64 v[63:64], v[63:64], v[116:117]
	v_mul_f64 v[116:117], v[10:11], s[18:19]
	v_fma_f64 v[114:115], v[6:7], s[2:3], v[112:113]
	v_fma_f64 v[112:113], v[6:7], s[2:3], -v[112:113]
	v_mul_f64 v[10:11], v[10:11], s[36:37]
	s_delay_alu instid0(VALU_DEP_4) | instskip(SKIP_1) | instid1(VALU_DEP_4)
	v_fma_f64 v[118:119], v[4:5], s[16:17], -v[116:117]
	v_fma_f64 v[116:117], v[4:5], s[16:17], v[116:117]
	v_add_f64 v[112:113], v[112:113], v[120:121]
	v_mul_f64 v[120:121], v[8:9], s[18:19]
	v_mul_f64 v[8:9], v[8:9], s[36:37]
	v_add_f64 v[114:115], v[114:115], v[122:123]
	v_add_f64 v[118:119], v[118:119], v[126:127]
	;; [unrolled: 1-line block ×3, first 2 shown]
	v_fma_f64 v[124:125], v[4:5], s[34:35], -v[10:11]
	v_fma_f64 v[4:5], v[4:5], s[34:35], v[10:11]
	v_add_f64 v[10:11], v[14:15], -v[18:19]
	v_fma_f64 v[126:127], v[6:7], s[34:35], v[8:9]
	v_fma_f64 v[122:123], v[6:7], s[16:17], v[120:121]
	v_fma_f64 v[120:121], v[6:7], s[16:17], -v[120:121]
	v_add_f64 v[124:125], v[124:125], v[132:133]
	v_add_f64 v[0:1], v[4:5], v[0:1]
	v_fma_f64 v[4:5], v[6:7], s[34:35], -v[8:9]
	v_add_f64 v[8:9], v[12:13], -v[16:17]
	v_add_f64 v[6:7], v[14:15], v[18:19]
	v_add_f64 v[120:121], v[120:121], v[128:129]
	;; [unrolled: 1-line block ×6, first 2 shown]
	v_mul_f64 v[12:13], v[10:11], s[52:53]
	v_mul_f64 v[16:17], v[8:9], s[52:53]
	s_delay_alu instid0(VALU_DEP_2) | instskip(SKIP_1) | instid1(VALU_DEP_3)
	v_fma_f64 v[14:15], v[4:5], s[16:17], -v[12:13]
	v_fma_f64 v[12:13], v[4:5], s[16:17], v[12:13]
	v_fma_f64 v[18:19], v[6:7], s[16:17], v[16:17]
	v_fma_f64 v[16:17], v[6:7], s[16:17], -v[16:17]
	s_delay_alu instid0(VALU_DEP_4) | instskip(NEXT) | instid1(VALU_DEP_4)
	v_add_f64 v[14:15], v[14:15], v[22:23]
	v_add_f64 v[12:13], v[12:13], v[20:21]
	v_mul_f64 v[20:21], v[10:11], s[22:23]
	s_delay_alu instid0(VALU_DEP_4) | instskip(SKIP_2) | instid1(VALU_DEP_4)
	v_add_f64 v[16:17], v[16:17], v[24:25]
	v_mul_f64 v[24:25], v[8:9], s[22:23]
	v_add_f64 v[18:19], v[18:19], v[28:29]
	v_fma_f64 v[22:23], v[4:5], s[20:21], -v[20:21]
	v_fma_f64 v[20:21], v[4:5], s[20:21], v[20:21]
	s_delay_alu instid0(VALU_DEP_4) | instskip(SKIP_1) | instid1(VALU_DEP_4)
	v_fma_f64 v[28:29], v[6:7], s[20:21], v[24:25]
	v_fma_f64 v[24:25], v[6:7], s[20:21], -v[24:25]
	v_add_f64 v[22:23], v[22:23], v[30:31]
	s_delay_alu instid0(VALU_DEP_4) | instskip(SKIP_1) | instid1(VALU_DEP_4)
	v_add_f64 v[20:21], v[20:21], v[26:27]
	v_mul_f64 v[26:27], v[10:11], s[56:57]
	v_add_f64 v[24:25], v[24:25], v[32:33]
	v_mul_f64 v[32:33], v[8:9], s[56:57]
	v_add_f64 v[28:29], v[28:29], v[34:35]
	s_delay_alu instid0(VALU_DEP_4) | instskip(SKIP_1) | instid1(VALU_DEP_4)
	v_fma_f64 v[30:31], v[4:5], s[38:39], -v[26:27]
	v_fma_f64 v[26:27], v[4:5], s[38:39], v[26:27]
	v_fma_f64 v[34:35], v[6:7], s[38:39], v[32:33]
	v_fma_f64 v[32:33], v[6:7], s[38:39], -v[32:33]
	s_delay_alu instid0(VALU_DEP_4) | instskip(NEXT) | instid1(VALU_DEP_4)
	v_add_f64 v[30:31], v[30:31], v[38:39]
	v_add_f64 v[26:27], v[26:27], v[36:37]
	v_mul_f64 v[36:37], v[10:11], s[50:51]
	s_delay_alu instid0(VALU_DEP_4) | instskip(SKIP_2) | instid1(VALU_DEP_4)
	v_add_f64 v[32:33], v[32:33], v[40:41]
	v_mul_f64 v[40:41], v[8:9], s[50:51]
	v_add_f64 v[34:35], v[34:35], v[42:43]
	v_fma_f64 v[38:39], v[4:5], s[2:3], -v[36:37]
	v_fma_f64 v[36:37], v[4:5], s[2:3], v[36:37]
	s_delay_alu instid0(VALU_DEP_4) | instskip(SKIP_1) | instid1(VALU_DEP_4)
	v_fma_f64 v[42:43], v[6:7], s[2:3], v[40:41]
	v_fma_f64 v[40:41], v[6:7], s[2:3], -v[40:41]
	v_add_f64 v[38:39], v[38:39], v[46:47]
	s_delay_alu instid0(VALU_DEP_4) | instskip(SKIP_1) | instid1(VALU_DEP_4)
	v_add_f64 v[36:37], v[36:37], v[44:45]
	v_mul_f64 v[44:45], v[10:11], s[28:29]
	v_add_f64 v[40:41], v[40:41], v[48:49]
	v_mul_f64 v[48:49], v[8:9], s[28:29]
	v_add_f64 v[42:43], v[42:43], v[50:51]
	s_delay_alu instid0(VALU_DEP_4) | instskip(SKIP_1) | instid1(VALU_DEP_4)
	v_fma_f64 v[46:47], v[4:5], s[24:25], -v[44:45]
	v_fma_f64 v[44:45], v[4:5], s[24:25], v[44:45]
	v_fma_f64 v[50:51], v[6:7], s[24:25], v[48:49]
	v_fma_f64 v[48:49], v[6:7], s[24:25], -v[48:49]
	s_delay_alu instid0(VALU_DEP_4) | instskip(NEXT) | instid1(VALU_DEP_4)
	v_add_f64 v[46:47], v[46:47], v[54:55]
	v_add_f64 v[44:45], v[44:45], v[52:53]
	v_mul_f64 v[52:53], v[10:11], s[42:43]
	s_delay_alu instid0(VALU_DEP_4) | instskip(SKIP_2) | instid1(VALU_DEP_4)
	v_add_f64 v[48:49], v[48:49], v[56:57]
	v_mul_f64 v[56:57], v[8:9], s[42:43]
	v_add_f64 v[50:51], v[50:51], v[61:62]
	v_fma_f64 v[54:55], v[4:5], s[34:35], -v[52:53]
	v_fma_f64 v[52:53], v[4:5], s[34:35], v[52:53]
	s_delay_alu instid0(VALU_DEP_4) | instskip(SKIP_1) | instid1(VALU_DEP_4)
	v_fma_f64 v[61:62], v[6:7], s[34:35], v[56:57]
	v_fma_f64 v[56:57], v[6:7], s[34:35], -v[56:57]
	v_add_f64 v[54:55], v[54:55], v[65:66]
	s_delay_alu instid0(VALU_DEP_4)
	v_add_f64 v[52:53], v[52:53], v[63:64]
	v_mul_f64 v[63:64], v[10:11], s[44:45]
	v_mul_f64 v[10:11], v[10:11], s[30:31]
	v_add_f64 v[56:57], v[56:57], v[112:113]
	v_mul_f64 v[112:113], v[8:9], s[44:45]
	v_mul_f64 v[8:9], v[8:9], s[30:31]
	v_add_f64 v[61:62], v[61:62], v[114:115]
	v_fma_f64 v[65:66], v[4:5], s[0:1], -v[63:64]
	v_fma_f64 v[63:64], v[4:5], s[0:1], v[63:64]
	v_fma_f64 v[114:115], v[6:7], s[0:1], v[112:113]
	v_fma_f64 v[112:113], v[6:7], s[0:1], -v[112:113]
	s_delay_alu instid0(VALU_DEP_4) | instskip(NEXT) | instid1(VALU_DEP_4)
	v_add_f64 v[65:66], v[65:66], v[118:119]
	v_add_f64 v[63:64], v[63:64], v[116:117]
	v_fma_f64 v[116:117], v[4:5], s[26:27], -v[10:11]
	v_fma_f64 v[4:5], v[4:5], s[26:27], v[10:11]
	v_add_f64 v[10:11], v[106:107], -v[110:111]
	v_fma_f64 v[118:119], v[6:7], s[26:27], v[8:9]
	v_add_f64 v[112:113], v[112:113], v[120:121]
	v_add_f64 v[114:115], v[114:115], v[122:123]
	;; [unrolled: 1-line block ×4, first 2 shown]
	v_fma_f64 v[4:5], v[6:7], s[26:27], -v[8:9]
	v_add_f64 v[8:9], v[104:105], -v[108:109]
	v_add_f64 v[6:7], v[106:107], v[110:111]
	v_add_f64 v[118:119], v[118:119], v[126:127]
	s_delay_alu instid0(VALU_DEP_4) | instskip(SKIP_2) | instid1(VALU_DEP_1)
	v_add_f64 v[2:3], v[4:5], v[2:3]
	v_add_f64 v[4:5], v[104:105], v[108:109]
	v_mul_f64 v[104:105], v[10:11], s[44:45]
	v_fma_f64 v[106:107], v[4:5], s[0:1], -v[104:105]
	v_fma_f64 v[104:105], v[4:5], s[0:1], v[104:105]
	s_delay_alu instid0(VALU_DEP_2) | instskip(SKIP_1) | instid1(VALU_DEP_3)
	v_add_f64 v[14:15], v[106:107], v[14:15]
	v_mul_f64 v[106:107], v[8:9], s[44:45]
	v_add_f64 v[12:13], v[104:105], v[12:13]
	s_delay_alu instid0(VALU_DEP_2) | instskip(SKIP_1) | instid1(VALU_DEP_2)
	v_fma_f64 v[104:105], v[6:7], s[0:1], -v[106:107]
	v_fma_f64 v[108:109], v[6:7], s[0:1], v[106:107]
	v_add_f64 v[16:17], v[104:105], v[16:17]
	v_mul_f64 v[104:105], v[10:11], s[40:41]
	s_delay_alu instid0(VALU_DEP_3) | instskip(NEXT) | instid1(VALU_DEP_2)
	v_add_f64 v[18:19], v[108:109], v[18:19]
	v_fma_f64 v[106:107], v[4:5], s[38:39], -v[104:105]
	v_fma_f64 v[104:105], v[4:5], s[38:39], v[104:105]
	s_delay_alu instid0(VALU_DEP_2) | instskip(SKIP_1) | instid1(VALU_DEP_3)
	v_add_f64 v[22:23], v[106:107], v[22:23]
	v_mul_f64 v[106:107], v[8:9], s[40:41]
	v_add_f64 v[20:21], v[104:105], v[20:21]
	s_delay_alu instid0(VALU_DEP_2) | instskip(SKIP_1) | instid1(VALU_DEP_2)
	v_fma_f64 v[104:105], v[6:7], s[38:39], -v[106:107]
	v_fma_f64 v[108:109], v[6:7], s[38:39], v[106:107]
	v_add_f64 v[24:25], v[104:105], v[24:25]
	v_mul_f64 v[104:105], v[10:11], s[50:51]
	s_delay_alu instid0(VALU_DEP_3) | instskip(NEXT) | instid1(VALU_DEP_2)
	v_add_f64 v[28:29], v[108:109], v[28:29]
	;; [unrolled: 13-line block ×5, first 2 shown]
	v_fma_f64 v[106:107], v[4:5], s[26:27], -v[104:105]
	v_fma_f64 v[104:105], v[4:5], s[26:27], v[104:105]
	s_delay_alu instid0(VALU_DEP_2) | instskip(SKIP_1) | instid1(VALU_DEP_3)
	v_add_f64 v[54:55], v[106:107], v[54:55]
	v_mul_f64 v[106:107], v[8:9], s[30:31]
	v_add_f64 v[52:53], v[104:105], v[52:53]
	s_delay_alu instid0(VALU_DEP_2) | instskip(SKIP_1) | instid1(VALU_DEP_2)
	v_fma_f64 v[104:105], v[6:7], s[26:27], -v[106:107]
	v_fma_f64 v[108:109], v[6:7], s[26:27], v[106:107]
	v_add_f64 v[56:57], v[104:105], v[56:57]
	v_mul_f64 v[104:105], v[10:11], s[48:49]
	v_mul_f64 v[10:11], v[10:11], s[28:29]
	s_delay_alu instid0(VALU_DEP_4) | instskip(NEXT) | instid1(VALU_DEP_3)
	v_add_f64 v[61:62], v[108:109], v[61:62]
	v_fma_f64 v[106:107], v[4:5], s[20:21], -v[104:105]
	v_fma_f64 v[104:105], v[4:5], s[20:21], v[104:105]
	s_delay_alu instid0(VALU_DEP_2) | instskip(SKIP_1) | instid1(VALU_DEP_3)
	v_add_f64 v[65:66], v[106:107], v[65:66]
	v_mul_f64 v[106:107], v[8:9], s[48:49]
	v_add_f64 v[63:64], v[104:105], v[63:64]
	v_mul_f64 v[8:9], v[8:9], s[28:29]
	s_delay_alu instid0(VALU_DEP_3)
	v_fma_f64 v[108:109], v[6:7], s[20:21], v[106:107]
	v_fma_f64 v[104:105], v[6:7], s[20:21], -v[106:107]
	v_fma_f64 v[106:107], v[4:5], s[24:25], -v[10:11]
	v_fma_f64 v[4:5], v[4:5], s[24:25], v[10:11]
	v_add_f64 v[10:11], v[98:99], -v[102:103]
	v_fma_f64 v[110:111], v[6:7], s[24:25], v[8:9]
	v_add_f64 v[108:109], v[108:109], v[114:115]
	v_add_f64 v[104:105], v[104:105], v[112:113]
	;; [unrolled: 1-line block ×4, first 2 shown]
	v_fma_f64 v[4:5], v[6:7], s[24:25], -v[8:9]
	v_add_f64 v[8:9], v[96:97], -v[100:101]
	v_add_f64 v[6:7], v[98:99], v[102:103]
	v_add_f64 v[110:111], v[110:111], v[118:119]
	s_delay_alu instid0(VALU_DEP_4) | instskip(SKIP_2) | instid1(VALU_DEP_1)
	v_add_f64 v[2:3], v[4:5], v[2:3]
	v_add_f64 v[4:5], v[96:97], v[100:101]
	v_mul_f64 v[96:97], v[10:11], s[14:15]
	v_fma_f64 v[98:99], v[4:5], s[2:3], -v[96:97]
	v_fma_f64 v[96:97], v[4:5], s[2:3], v[96:97]
	s_delay_alu instid0(VALU_DEP_2) | instskip(SKIP_1) | instid1(VALU_DEP_3)
	v_add_f64 v[14:15], v[98:99], v[14:15]
	v_mul_f64 v[98:99], v[8:9], s[14:15]
	v_add_f64 v[12:13], v[96:97], v[12:13]
	s_delay_alu instid0(VALU_DEP_2) | instskip(SKIP_1) | instid1(VALU_DEP_2)
	v_fma_f64 v[96:97], v[6:7], s[2:3], -v[98:99]
	v_fma_f64 v[100:101], v[6:7], s[2:3], v[98:99]
	v_add_f64 v[16:17], v[96:97], v[16:17]
	v_mul_f64 v[96:97], v[10:11], s[54:55]
	s_delay_alu instid0(VALU_DEP_3) | instskip(NEXT) | instid1(VALU_DEP_2)
	v_add_f64 v[18:19], v[100:101], v[18:19]
	v_fma_f64 v[98:99], v[4:5], s[26:27], -v[96:97]
	v_fma_f64 v[96:97], v[4:5], s[26:27], v[96:97]
	s_delay_alu instid0(VALU_DEP_2) | instskip(SKIP_1) | instid1(VALU_DEP_3)
	v_add_f64 v[22:23], v[98:99], v[22:23]
	v_mul_f64 v[98:99], v[8:9], s[54:55]
	v_add_f64 v[20:21], v[96:97], v[20:21]
	s_delay_alu instid0(VALU_DEP_2) | instskip(SKIP_1) | instid1(VALU_DEP_2)
	v_fma_f64 v[96:97], v[6:7], s[26:27], -v[98:99]
	v_fma_f64 v[100:101], v[6:7], s[26:27], v[98:99]
	v_add_f64 v[24:25], v[96:97], v[24:25]
	v_mul_f64 v[96:97], v[10:11], s[28:29]
	s_delay_alu instid0(VALU_DEP_3) | instskip(NEXT) | instid1(VALU_DEP_2)
	v_add_f64 v[28:29], v[100:101], v[28:29]
	;; [unrolled: 13-line block ×5, first 2 shown]
	v_fma_f64 v[98:99], v[4:5], s[0:1], -v[96:97]
	v_fma_f64 v[96:97], v[4:5], s[0:1], v[96:97]
	s_delay_alu instid0(VALU_DEP_2) | instskip(SKIP_1) | instid1(VALU_DEP_3)
	v_add_f64 v[54:55], v[98:99], v[54:55]
	v_mul_f64 v[98:99], v[8:9], s[8:9]
	v_add_f64 v[52:53], v[96:97], v[52:53]
	s_delay_alu instid0(VALU_DEP_2) | instskip(SKIP_1) | instid1(VALU_DEP_2)
	v_fma_f64 v[96:97], v[6:7], s[0:1], -v[98:99]
	v_fma_f64 v[100:101], v[6:7], s[0:1], v[98:99]
	v_add_f64 v[56:57], v[96:97], v[56:57]
	v_mul_f64 v[96:97], v[10:11], s[42:43]
	v_mul_f64 v[10:11], v[10:11], s[22:23]
	s_delay_alu instid0(VALU_DEP_4) | instskip(NEXT) | instid1(VALU_DEP_3)
	v_add_f64 v[61:62], v[100:101], v[61:62]
	v_fma_f64 v[98:99], v[4:5], s[34:35], -v[96:97]
	v_fma_f64 v[96:97], v[4:5], s[34:35], v[96:97]
	s_delay_alu instid0(VALU_DEP_2) | instskip(SKIP_1) | instid1(VALU_DEP_3)
	v_add_f64 v[65:66], v[98:99], v[65:66]
	v_mul_f64 v[98:99], v[8:9], s[42:43]
	v_add_f64 v[63:64], v[96:97], v[63:64]
	v_mul_f64 v[8:9], v[8:9], s[22:23]
	s_delay_alu instid0(VALU_DEP_3)
	v_fma_f64 v[100:101], v[6:7], s[34:35], v[98:99]
	v_fma_f64 v[96:97], v[6:7], s[34:35], -v[98:99]
	v_fma_f64 v[98:99], v[4:5], s[20:21], -v[10:11]
	v_fma_f64 v[4:5], v[4:5], s[20:21], v[10:11]
	v_add_f64 v[10:11], v[90:91], -v[94:95]
	v_fma_f64 v[102:103], v[6:7], s[20:21], v[8:9]
	v_add_f64 v[100:101], v[100:101], v[108:109]
	v_add_f64 v[96:97], v[96:97], v[104:105]
	;; [unrolled: 1-line block ×4, first 2 shown]
	v_fma_f64 v[4:5], v[6:7], s[20:21], -v[8:9]
	v_add_f64 v[8:9], v[88:89], -v[92:93]
	v_add_f64 v[6:7], v[90:91], v[94:95]
	v_add_f64 v[102:103], v[102:103], v[110:111]
	s_delay_alu instid0(VALU_DEP_4) | instskip(SKIP_2) | instid1(VALU_DEP_1)
	v_add_f64 v[2:3], v[4:5], v[2:3]
	v_add_f64 v[4:5], v[88:89], v[92:93]
	v_mul_f64 v[88:89], v[10:11], s[22:23]
	v_fma_f64 v[90:91], v[4:5], s[20:21], -v[88:89]
	v_fma_f64 v[88:89], v[4:5], s[20:21], v[88:89]
	s_delay_alu instid0(VALU_DEP_2) | instskip(SKIP_1) | instid1(VALU_DEP_3)
	v_add_f64 v[14:15], v[90:91], v[14:15]
	v_mul_f64 v[90:91], v[8:9], s[22:23]
	v_add_f64 v[12:13], v[88:89], v[12:13]
	s_delay_alu instid0(VALU_DEP_2) | instskip(SKIP_1) | instid1(VALU_DEP_2)
	v_fma_f64 v[88:89], v[6:7], s[20:21], -v[90:91]
	v_fma_f64 v[92:93], v[6:7], s[20:21], v[90:91]
	v_add_f64 v[16:17], v[88:89], v[16:17]
	v_mul_f64 v[88:89], v[10:11], s[50:51]
	s_delay_alu instid0(VALU_DEP_3) | instskip(NEXT) | instid1(VALU_DEP_2)
	v_add_f64 v[18:19], v[92:93], v[18:19]
	v_fma_f64 v[90:91], v[4:5], s[2:3], -v[88:89]
	v_fma_f64 v[88:89], v[4:5], s[2:3], v[88:89]
	s_delay_alu instid0(VALU_DEP_2) | instskip(SKIP_1) | instid1(VALU_DEP_3)
	v_add_f64 v[22:23], v[90:91], v[22:23]
	v_mul_f64 v[90:91], v[8:9], s[50:51]
	v_add_f64 v[20:21], v[88:89], v[20:21]
	s_delay_alu instid0(VALU_DEP_2) | instskip(SKIP_1) | instid1(VALU_DEP_2)
	v_fma_f64 v[88:89], v[6:7], s[2:3], -v[90:91]
	v_fma_f64 v[92:93], v[6:7], s[2:3], v[90:91]
	v_add_f64 v[24:25], v[88:89], v[24:25]
	v_mul_f64 v[88:89], v[10:11], s[42:43]
	s_delay_alu instid0(VALU_DEP_3) | instskip(NEXT) | instid1(VALU_DEP_2)
	v_add_f64 v[28:29], v[92:93], v[28:29]
	;; [unrolled: 13-line block ×5, first 2 shown]
	v_fma_f64 v[90:91], v[4:5], s[24:25], -v[88:89]
	v_fma_f64 v[88:89], v[4:5], s[24:25], v[88:89]
	s_delay_alu instid0(VALU_DEP_2) | instskip(SKIP_1) | instid1(VALU_DEP_3)
	v_add_f64 v[54:55], v[90:91], v[54:55]
	v_mul_f64 v[90:91], v[8:9], s[46:47]
	v_add_f64 v[52:53], v[88:89], v[52:53]
	s_delay_alu instid0(VALU_DEP_2) | instskip(SKIP_1) | instid1(VALU_DEP_2)
	v_fma_f64 v[88:89], v[6:7], s[24:25], -v[90:91]
	v_fma_f64 v[92:93], v[6:7], s[24:25], v[90:91]
	v_add_f64 v[56:57], v[88:89], v[56:57]
	v_mul_f64 v[88:89], v[10:11], s[40:41]
	v_mul_f64 v[10:11], v[10:11], s[18:19]
	s_delay_alu instid0(VALU_DEP_4) | instskip(NEXT) | instid1(VALU_DEP_3)
	v_add_f64 v[61:62], v[92:93], v[61:62]
	v_fma_f64 v[90:91], v[4:5], s[38:39], -v[88:89]
	v_fma_f64 v[88:89], v[4:5], s[38:39], v[88:89]
	s_delay_alu instid0(VALU_DEP_2) | instskip(SKIP_1) | instid1(VALU_DEP_3)
	v_add_f64 v[65:66], v[90:91], v[65:66]
	v_mul_f64 v[90:91], v[8:9], s[40:41]
	v_add_f64 v[63:64], v[88:89], v[63:64]
	v_mul_f64 v[8:9], v[8:9], s[18:19]
	s_delay_alu instid0(VALU_DEP_3) | instskip(SKIP_1) | instid1(VALU_DEP_2)
	v_fma_f64 v[88:89], v[6:7], s[38:39], -v[90:91]
	v_fma_f64 v[92:93], v[6:7], s[38:39], v[90:91]
	v_add_f64 v[118:119], v[88:89], v[96:97]
	v_fma_f64 v[88:89], v[4:5], s[16:17], -v[10:11]
	v_fma_f64 v[4:5], v[4:5], s[16:17], v[10:11]
	v_add_f64 v[10:11], v[82:83], -v[86:87]
	v_add_f64 v[116:117], v[92:93], v[100:101]
	s_delay_alu instid0(VALU_DEP_4) | instskip(NEXT) | instid1(VALU_DEP_4)
	v_add_f64 v[120:121], v[88:89], v[98:99]
	v_add_f64 v[0:1], v[4:5], v[0:1]
	v_fma_f64 v[4:5], v[6:7], s[16:17], -v[8:9]
	v_fma_f64 v[88:89], v[6:7], s[16:17], v[8:9]
	v_add_f64 v[8:9], v[80:81], -v[84:85]
	v_add_f64 v[6:7], v[82:83], v[86:87]
	s_delay_alu instid0(VALU_DEP_4) | instskip(SKIP_3) | instid1(VALU_DEP_2)
	v_add_f64 v[2:3], v[4:5], v[2:3]
	v_add_f64 v[4:5], v[80:81], v[84:85]
	v_mul_f64 v[80:81], v[10:11], s[30:31]
	v_add_f64 v[144:145], v[88:89], v[102:103]
	v_fma_f64 v[82:83], v[4:5], s[26:27], -v[80:81]
	s_delay_alu instid0(VALU_DEP_1) | instskip(SKIP_1) | instid1(VALU_DEP_1)
	v_add_f64 v[140:141], v[82:83], v[14:15]
	v_mul_f64 v[14:15], v[8:9], s[30:31]
	v_fma_f64 v[82:83], v[6:7], s[26:27], v[14:15]
	s_delay_alu instid0(VALU_DEP_1) | instskip(SKIP_1) | instid1(VALU_DEP_1)
	v_add_f64 v[142:143], v[82:83], v[18:19]
	v_fma_f64 v[18:19], v[4:5], s[26:27], v[80:81]
	v_add_f64 v[138:139], v[18:19], v[12:13]
	v_fma_f64 v[12:13], v[6:7], s[26:27], -v[14:15]
	s_delay_alu instid0(VALU_DEP_1) | instskip(SKIP_1) | instid1(VALU_DEP_1)
	v_add_f64 v[136:137], v[12:13], v[16:17]
	v_mul_f64 v[12:13], v[10:11], s[18:19]
	v_fma_f64 v[14:15], v[4:5], s[16:17], -v[12:13]
	v_fma_f64 v[12:13], v[4:5], s[16:17], v[12:13]
	s_delay_alu instid0(VALU_DEP_2) | instskip(SKIP_1) | instid1(VALU_DEP_3)
	v_add_f64 v[80:81], v[14:15], v[22:23]
	v_mul_f64 v[14:15], v[8:9], s[18:19]
	v_add_f64 v[84:85], v[12:13], v[20:21]
	s_delay_alu instid0(VALU_DEP_2) | instskip(SKIP_1) | instid1(VALU_DEP_2)
	v_fma_f64 v[12:13], v[6:7], s[16:17], -v[14:15]
	v_fma_f64 v[16:17], v[6:7], s[16:17], v[14:15]
	v_add_f64 v[86:87], v[12:13], v[24:25]
	v_mul_f64 v[12:13], v[10:11], s[44:45]
	s_delay_alu instid0(VALU_DEP_3) | instskip(NEXT) | instid1(VALU_DEP_2)
	v_add_f64 v[82:83], v[16:17], v[28:29]
	v_fma_f64 v[14:15], v[4:5], s[0:1], -v[12:13]
	v_fma_f64 v[12:13], v[4:5], s[0:1], v[12:13]
	s_delay_alu instid0(VALU_DEP_2) | instskip(SKIP_1) | instid1(VALU_DEP_3)
	v_add_f64 v[88:89], v[14:15], v[30:31]
	v_mul_f64 v[14:15], v[8:9], s[44:45]
	v_add_f64 v[92:93], v[12:13], v[26:27]
	s_delay_alu instid0(VALU_DEP_2) | instskip(SKIP_1) | instid1(VALU_DEP_2)
	v_fma_f64 v[12:13], v[6:7], s[0:1], -v[14:15]
	v_fma_f64 v[16:17], v[6:7], s[0:1], v[14:15]
	v_add_f64 v[94:95], v[12:13], v[32:33]
	v_mul_f64 v[12:13], v[10:11], s[48:49]
	s_delay_alu instid0(VALU_DEP_3) | instskip(NEXT) | instid1(VALU_DEP_2)
	v_add_f64 v[90:91], v[16:17], v[34:35]
	;; [unrolled: 13-line block ×4, first 2 shown]
	v_fma_f64 v[14:15], v[4:5], s[38:39], -v[12:13]
	v_fma_f64 v[12:13], v[4:5], s[38:39], v[12:13]
	s_delay_alu instid0(VALU_DEP_2) | instskip(SKIP_1) | instid1(VALU_DEP_3)
	v_add_f64 v[112:113], v[14:15], v[54:55]
	v_mul_f64 v[14:15], v[8:9], s[40:41]
	v_add_f64 v[134:135], v[12:13], v[52:53]
	s_delay_alu instid0(VALU_DEP_2) | instskip(SKIP_1) | instid1(VALU_DEP_2)
	v_fma_f64 v[12:13], v[6:7], s[38:39], -v[14:15]
	v_fma_f64 v[16:17], v[6:7], s[38:39], v[14:15]
	v_add_f64 v[132:133], v[12:13], v[56:57]
	v_mul_f64 v[12:13], v[10:11], s[28:29]
	v_mul_f64 v[10:11], v[10:11], s[14:15]
	s_delay_alu instid0(VALU_DEP_4) | instskip(NEXT) | instid1(VALU_DEP_3)
	v_add_f64 v[114:115], v[16:17], v[61:62]
	v_fma_f64 v[14:15], v[4:5], s[24:25], -v[12:13]
	v_fma_f64 v[12:13], v[4:5], s[24:25], v[12:13]
	s_delay_alu instid0(VALU_DEP_2) | instskip(SKIP_1) | instid1(VALU_DEP_3)
	v_add_f64 v[128:129], v[14:15], v[65:66]
	v_mul_f64 v[14:15], v[8:9], s[28:29]
	v_add_f64 v[126:127], v[12:13], v[63:64]
	v_mul_f64 v[8:9], v[8:9], s[14:15]
	s_delay_alu instid0(VALU_DEP_3) | instskip(SKIP_1) | instid1(VALU_DEP_2)
	v_fma_f64 v[12:13], v[6:7], s[24:25], -v[14:15]
	v_fma_f64 v[16:17], v[6:7], s[24:25], v[14:15]
	v_add_f64 v[124:125], v[12:13], v[118:119]
	v_fma_f64 v[12:13], v[4:5], s[2:3], -v[10:11]
	v_fma_f64 v[4:5], v[4:5], s[2:3], v[10:11]
	s_delay_alu instid0(VALU_DEP_4) | instskip(NEXT) | instid1(VALU_DEP_3)
	v_add_f64 v[130:131], v[16:17], v[116:117]
	v_add_f64 v[122:123], v[12:13], v[120:121]
	s_delay_alu instid0(VALU_DEP_3) | instskip(SKIP_3) | instid1(VALU_DEP_3)
	v_add_f64 v[118:119], v[4:5], v[0:1]
	v_fma_f64 v[0:1], v[6:7], s[2:3], -v[8:9]
	v_add_f64 v[4:5], v[74:75], -v[78:79]
	v_fma_f64 v[12:13], v[6:7], s[2:3], v[8:9]
	v_add_f64 v[116:117], v[0:1], v[2:3]
	v_add_f64 v[0:1], v[72:73], v[76:77]
	s_delay_alu instid0(VALU_DEP_4)
	v_mul_f64 v[6:7], v[4:5], s[40:41]
	v_add_f64 v[2:3], v[72:73], -v[76:77]
	v_add_f64 v[120:121], v[12:13], v[144:145]
	v_add_f64 v[144:145], v[74:75], v[78:79]
	v_mul_f64 v[14:15], v[4:5], s[14:15]
	v_fma_f64 v[8:9], v[0:1], s[38:39], -v[6:7]
	v_fma_f64 v[6:7], v[0:1], s[38:39], v[6:7]
	v_mul_f64 v[16:17], v[2:3], s[14:15]
	s_delay_alu instid0(VALU_DEP_3) | instskip(SKIP_1) | instid1(VALU_DEP_4)
	v_add_f64 v[76:77], v[8:9], v[140:141]
	v_mul_f64 v[8:9], v[2:3], s[40:41]
	v_add_f64 v[72:73], v[6:7], v[138:139]
	s_delay_alu instid0(VALU_DEP_4) | instskip(SKIP_1) | instid1(VALU_DEP_4)
	v_fma_f64 v[12:13], v[144:145], s[2:3], v[16:17]
	v_fma_f64 v[16:17], v[144:145], s[2:3], -v[16:17]
	v_fma_f64 v[6:7], v[144:145], s[38:39], -v[8:9]
	v_fma_f64 v[10:11], v[144:145], s[38:39], v[8:9]
	s_delay_alu instid0(VALU_DEP_4) | instskip(NEXT) | instid1(VALU_DEP_4)
	v_add_f64 v[12:13], v[12:13], v[130:131]
	v_add_f64 v[16:17], v[16:17], v[124:125]
	s_delay_alu instid0(VALU_DEP_4) | instskip(SKIP_2) | instid1(VALU_DEP_2)
	v_add_f64 v[74:75], v[6:7], v[136:137]
	v_mul_f64 v[6:7], v[4:5], s[36:37]
	v_add_f64 v[78:79], v[10:11], v[142:143]
	v_fma_f64 v[8:9], v[0:1], s[34:35], -v[6:7]
	v_fma_f64 v[6:7], v[0:1], s[34:35], v[6:7]
	s_delay_alu instid0(VALU_DEP_2) | instskip(SKIP_1) | instid1(VALU_DEP_3)
	v_add_f64 v[80:81], v[8:9], v[80:81]
	v_mul_f64 v[8:9], v[2:3], s[36:37]
	v_add_f64 v[84:85], v[6:7], v[84:85]
	s_delay_alu instid0(VALU_DEP_2) | instskip(SKIP_1) | instid1(VALU_DEP_2)
	v_fma_f64 v[6:7], v[144:145], s[34:35], -v[8:9]
	v_fma_f64 v[10:11], v[144:145], s[34:35], v[8:9]
	v_add_f64 v[86:87], v[6:7], v[86:87]
	v_mul_f64 v[6:7], v[4:5], s[30:31]
	s_delay_alu instid0(VALU_DEP_3) | instskip(NEXT) | instid1(VALU_DEP_2)
	v_add_f64 v[82:83], v[10:11], v[82:83]
	v_fma_f64 v[8:9], v[0:1], s[26:27], -v[6:7]
	v_fma_f64 v[6:7], v[0:1], s[26:27], v[6:7]
	s_delay_alu instid0(VALU_DEP_2) | instskip(SKIP_1) | instid1(VALU_DEP_3)
	v_add_f64 v[88:89], v[8:9], v[88:89]
	v_mul_f64 v[8:9], v[2:3], s[30:31]
	v_add_f64 v[92:93], v[6:7], v[92:93]
	s_delay_alu instid0(VALU_DEP_2) | instskip(SKIP_1) | instid1(VALU_DEP_2)
	v_fma_f64 v[6:7], v[144:145], s[26:27], -v[8:9]
	v_fma_f64 v[10:11], v[144:145], s[26:27], v[8:9]
	v_add_f64 v[94:95], v[6:7], v[94:95]
	v_mul_f64 v[6:7], v[4:5], s[28:29]
	s_delay_alu instid0(VALU_DEP_3) | instskip(NEXT) | instid1(VALU_DEP_2)
	;; [unrolled: 13-line block ×3, first 2 shown]
	v_add_f64 v[98:99], v[10:11], v[98:99]
	v_fma_f64 v[8:9], v[0:1], s[20:21], -v[6:7]
	v_fma_f64 v[6:7], v[0:1], s[20:21], v[6:7]
	s_delay_alu instid0(VALU_DEP_2) | instskip(SKIP_1) | instid1(VALU_DEP_3)
	v_add_f64 v[104:105], v[8:9], v[104:105]
	v_mul_f64 v[8:9], v[2:3], s[22:23]
	v_add_f64 v[108:109], v[6:7], v[108:109]
	s_delay_alu instid0(VALU_DEP_2) | instskip(SKIP_1) | instid1(VALU_DEP_2)
	v_fma_f64 v[6:7], v[144:145], s[20:21], -v[8:9]
	v_fma_f64 v[10:11], v[144:145], s[20:21], v[8:9]
	v_add_f64 v[110:111], v[6:7], v[110:111]
	v_mul_f64 v[6:7], v[4:5], s[18:19]
	s_delay_alu instid0(VALU_DEP_3) | instskip(SKIP_1) | instid1(VALU_DEP_3)
	v_add_f64 v[106:107], v[10:11], v[106:107]
	v_mul_f64 v[4:5], v[4:5], s[8:9]
	v_fma_f64 v[8:9], v[0:1], s[16:17], -v[6:7]
	v_fma_f64 v[6:7], v[0:1], s[16:17], v[6:7]
	s_delay_alu instid0(VALU_DEP_3) | instskip(NEXT) | instid1(VALU_DEP_3)
	v_fma_f64 v[18:19], v[0:1], s[0:1], -v[4:5]
	v_add_f64 v[112:113], v[8:9], v[112:113]
	v_mul_f64 v[8:9], v[2:3], s[18:19]
	v_mul_f64 v[2:3], v[2:3], s[8:9]
	s_delay_alu instid0(VALU_DEP_4) | instskip(SKIP_1) | instid1(VALU_DEP_4)
	v_add_f64 v[18:19], v[18:19], v[122:123]
	v_add_f64 v[6:7], v[6:7], v[134:135]
	v_fma_f64 v[10:11], v[144:145], s[16:17], v[8:9]
	s_delay_alu instid0(VALU_DEP_4) | instskip(SKIP_2) | instid1(VALU_DEP_4)
	v_fma_f64 v[20:21], v[144:145], s[0:1], v[2:3]
	v_fma_f64 v[2:3], v[144:145], s[0:1], -v[2:3]
	v_fma_f64 v[8:9], v[144:145], s[16:17], -v[8:9]
	v_add_f64 v[114:115], v[10:11], v[114:115]
	v_fma_f64 v[10:11], v[0:1], s[2:3], -v[14:15]
	v_fma_f64 v[14:15], v[0:1], s[2:3], v[14:15]
	v_fma_f64 v[0:1], v[0:1], s[0:1], v[4:5]
	v_add_f64 v[20:21], v[20:21], v[120:121]
	v_add_f64 v[2:3], v[2:3], v[116:117]
	;; [unrolled: 1-line block ×3, first 2 shown]
	v_mul_lo_u16 v4, v60, 17
	s_delay_alu instid0(VALU_DEP_1) | instskip(NEXT) | instid1(VALU_DEP_1)
	v_and_b32_e32 v4, 0xffff, v4
	v_lshlrev_b32_e32 v241, 4, v4
	v_add_f64 v[10:11], v[10:11], v[128:129]
	v_add_f64 v[14:15], v[14:15], v[126:127]
	;; [unrolled: 1-line block ×3, first 2 shown]
	ds_store_b128 v241, v[68:71]
	ds_store_b128 v241, v[76:79] offset:16
	ds_store_b128 v241, v[80:83] offset:32
	;; [unrolled: 1-line block ×16, first 2 shown]
	v_and_b32_e32 v12, 0xff, v60
	s_waitcnt lgkmcnt(0)
	s_barrier
	buffer_gl0_inv
	ds_load_b128 v[136:139], v255
	ds_load_b128 v[0:3], v255 offset:816
	ds_load_b128 v[4:7], v255 offset:1632
	ds_load_b128 v[8:11], v255 offset:2448
	ds_load_b128 v[24:27], v255 offset:3264
	ds_load_b128 v[28:31], v255 offset:4080
	ds_load_b128 v[108:111], v255 offset:4896
	ds_load_b128 v[104:107], v255 offset:5712
	ds_load_b128 v[96:99], v255 offset:6528
	ds_load_b128 v[128:131], v255 offset:7344
	ds_load_b128 v[124:127], v255 offset:8160
	ds_load_b128 v[120:123], v255 offset:8976
	ds_load_b128 v[112:115], v255 offset:9792
	ds_load_b128 v[148:151], v255 offset:10608
	ds_load_b128 v[144:147], v255 offset:11424
	ds_load_b128 v[140:143], v255 offset:12240
	ds_load_b128 v[132:135], v255 offset:13056
	v_mul_lo_u16 v12, 0xf1, v12
	s_delay_alu instid0(VALU_DEP_1) | instskip(NEXT) | instid1(VALU_DEP_1)
	v_lshrrev_b16 v61, 12, v12
	v_mul_lo_u16 v12, v61, 17
	s_delay_alu instid0(VALU_DEP_1) | instskip(NEXT) | instid1(VALU_DEP_1)
	v_sub_nc_u16 v12, v60, v12
	v_and_b32_e32 v62, 0xff, v12
	s_delay_alu instid0(VALU_DEP_1)
	v_lshlrev_b32_e32 v14, 8, v62
	s_clause 0x3
	global_load_b128 v[36:39], v14, s[10:11] offset:48
	global_load_b128 v[40:43], v14, s[10:11] offset:32
	;; [unrolled: 1-line block ×3, first 2 shown]
	global_load_b128 v[84:87], v14, s[10:11]
	s_waitcnt vmcnt(3)
	scratch_store_b128 off, v[36:39], off offset:300 ; 16-byte Folded Spill
	s_waitcnt vmcnt(2)
	scratch_store_b128 off, v[40:43], off offset:316 ; 16-byte Folded Spill
	s_clause 0x3
	global_load_b128 v[80:83], v14, s[10:11] offset:112
	global_load_b128 v[88:91], v14, s[10:11] offset:96
	;; [unrolled: 1-line block ×4, first 2 shown]
	s_waitcnt vmcnt(4) lgkmcnt(15)
	v_mul_f64 v[12:13], v[2:3], v[86:87]
	s_delay_alu instid0(VALU_DEP_1) | instskip(SKIP_1) | instid1(VALU_DEP_1)
	v_fma_f64 v[34:35], v[0:1], v[84:85], -v[12:13]
	v_mul_f64 v[0:1], v[0:1], v[86:87]
	v_fma_f64 v[32:33], v[2:3], v[84:85], v[0:1]
	s_waitcnt lgkmcnt(14)
	v_mul_f64 v[0:1], v[6:7], v[78:79]
	s_delay_alu instid0(VALU_DEP_1) | instskip(SKIP_1) | instid1(VALU_DEP_1)
	v_fma_f64 v[22:23], v[4:5], v[76:77], -v[0:1]
	v_mul_f64 v[0:1], v[4:5], v[78:79]
	v_fma_f64 v[20:21], v[6:7], v[76:77], v[0:1]
	s_waitcnt lgkmcnt(13)
	;; [unrolled: 6-line block ×3, first 2 shown]
	v_mul_f64 v[0:1], v[26:27], v[38:39]
	v_add_f64 v[40:41], v[138:139], v[32:33]
	s_delay_alu instid0(VALU_DEP_2) | instskip(SKIP_1) | instid1(VALU_DEP_3)
	v_fma_f64 v[8:9], v[24:25], v[36:37], -v[0:1]
	v_mul_f64 v[0:1], v[24:25], v[38:39]
	v_add_f64 v[40:41], v[40:41], v[20:21]
	s_delay_alu instid0(VALU_DEP_2) | instskip(NEXT) | instid1(VALU_DEP_2)
	v_fma_f64 v[6:7], v[26:27], v[36:37], v[0:1]
	v_add_f64 v[40:41], v[40:41], v[12:13]
	s_waitcnt vmcnt(0) lgkmcnt(11)
	v_mul_f64 v[0:1], v[30:31], v[102:103]
	s_delay_alu instid0(VALU_DEP_2) | instskip(NEXT) | instid1(VALU_DEP_2)
	v_add_f64 v[40:41], v[40:41], v[6:7]
	v_fma_f64 v[2:3], v[28:29], v[100:101], -v[0:1]
	v_mul_f64 v[0:1], v[28:29], v[102:103]
	s_delay_alu instid0(VALU_DEP_1) | instskip(SKIP_2) | instid1(VALU_DEP_2)
	v_fma_f64 v[176:177], v[30:31], v[100:101], v[0:1]
	s_waitcnt lgkmcnt(10)
	v_mul_f64 v[0:1], v[110:111], v[94:95]
	v_add_f64 v[40:41], v[40:41], v[176:177]
	s_delay_alu instid0(VALU_DEP_2) | instskip(SKIP_1) | instid1(VALU_DEP_1)
	v_fma_f64 v[172:173], v[108:109], v[92:93], -v[0:1]
	v_mul_f64 v[0:1], v[108:109], v[94:95]
	v_fma_f64 v[168:169], v[110:111], v[92:93], v[0:1]
	s_waitcnt lgkmcnt(9)
	v_mul_f64 v[0:1], v[106:107], v[90:91]
	s_delay_alu instid0(VALU_DEP_2) | instskip(NEXT) | instid1(VALU_DEP_2)
	v_add_f64 v[40:41], v[40:41], v[168:169]
	v_fma_f64 v[164:165], v[104:105], v[88:89], -v[0:1]
	v_mul_f64 v[0:1], v[104:105], v[90:91]
	s_delay_alu instid0(VALU_DEP_1) | instskip(SKIP_2) | instid1(VALU_DEP_2)
	v_fma_f64 v[160:161], v[106:107], v[88:89], v[0:1]
	s_waitcnt lgkmcnt(8)
	v_mul_f64 v[0:1], v[98:99], v[82:83]
	v_add_f64 v[40:41], v[40:41], v[160:161]
	s_delay_alu instid0(VALU_DEP_2) | instskip(SKIP_1) | instid1(VALU_DEP_1)
	v_fma_f64 v[156:157], v[96:97], v[80:81], -v[0:1]
	v_mul_f64 v[0:1], v[96:97], v[82:83]
	v_fma_f64 v[152:153], v[98:99], v[80:81], v[0:1]
	s_clause 0x3
	global_load_b128 v[96:99], v14, s[10:11] offset:176
	global_load_b128 v[104:107], v14, s[10:11] offset:160
	;; [unrolled: 1-line block ×4, first 2 shown]
	v_add_f64 v[40:41], v[40:41], v[152:153]
	s_waitcnt vmcnt(0) lgkmcnt(7)
	v_mul_f64 v[0:1], v[130:131], v[118:119]
	s_delay_alu instid0(VALU_DEP_1) | instskip(SKIP_1) | instid1(VALU_DEP_1)
	v_fma_f64 v[158:159], v[128:129], v[116:117], -v[0:1]
	v_mul_f64 v[0:1], v[128:129], v[118:119]
	v_fma_f64 v[154:155], v[130:131], v[116:117], v[0:1]
	s_waitcnt lgkmcnt(6)
	v_mul_f64 v[0:1], v[126:127], v[110:111]
	s_delay_alu instid0(VALU_DEP_2) | instskip(NEXT) | instid1(VALU_DEP_2)
	v_add_f64 v[40:41], v[40:41], v[154:155]
	v_fma_f64 v[166:167], v[124:125], v[108:109], -v[0:1]
	v_mul_f64 v[0:1], v[124:125], v[110:111]
	s_delay_alu instid0(VALU_DEP_1) | instskip(SKIP_2) | instid1(VALU_DEP_2)
	v_fma_f64 v[162:163], v[126:127], v[108:109], v[0:1]
	s_waitcnt lgkmcnt(5)
	v_mul_f64 v[0:1], v[122:123], v[106:107]
	v_add_f64 v[40:41], v[40:41], v[162:163]
	s_delay_alu instid0(VALU_DEP_2) | instskip(SKIP_1) | instid1(VALU_DEP_1)
	v_fma_f64 v[174:175], v[120:121], v[104:105], -v[0:1]
	v_mul_f64 v[0:1], v[120:121], v[106:107]
	v_fma_f64 v[170:171], v[122:123], v[104:105], v[0:1]
	s_waitcnt lgkmcnt(4)
	v_mul_f64 v[0:1], v[114:115], v[98:99]
	s_delay_alu instid0(VALU_DEP_2) | instskip(NEXT) | instid1(VALU_DEP_2)
	v_add_f64 v[40:41], v[40:41], v[170:171]
	v_fma_f64 v[4:5], v[112:113], v[96:97], -v[0:1]
	v_mul_f64 v[0:1], v[112:113], v[98:99]
	s_delay_alu instid0(VALU_DEP_1)
	v_fma_f64 v[0:1], v[114:115], v[96:97], v[0:1]
	s_clause 0x3
	global_load_b128 v[112:115], v14, s[10:11] offset:240
	global_load_b128 v[120:123], v14, s[10:11] offset:224
	;; [unrolled: 1-line block ×4, first 2 shown]
	s_waitcnt vmcnt(0) lgkmcnt(0)
	s_waitcnt_vscnt null, 0x0
	s_barrier
	buffer_gl0_inv
	v_add_f64 v[40:41], v[40:41], v[0:1]
	v_mul_f64 v[30:31], v[134:135], v[114:115]
	v_mul_f64 v[26:27], v[142:143], v[122:123]
	;; [unrolled: 1-line block ×4, first 2 shown]
	s_delay_alu instid0(VALU_DEP_4) | instskip(SKIP_1) | instid1(VALU_DEP_4)
	v_fma_f64 v[36:37], v[132:133], v[112:113], -v[30:31]
	v_mul_f64 v[30:31], v[132:133], v[114:115]
	v_fma_f64 v[24:25], v[144:145], v[124:125], -v[18:19]
	s_delay_alu instid0(VALU_DEP_4)
	v_fma_f64 v[14:15], v[148:149], v[128:129], -v[10:11]
	v_mul_f64 v[10:11], v[148:149], v[130:131]
	v_mul_f64 v[18:19], v[144:145], v[126:127]
	v_fma_f64 v[28:29], v[140:141], v[120:121], -v[26:27]
	v_mul_f64 v[26:27], v[140:141], v[122:123]
	v_add_f64 v[50:51], v[34:35], -v[36:37]
	v_fma_f64 v[38:39], v[134:135], v[112:113], v[30:31]
	v_add_f64 v[30:31], v[136:137], v[34:35]
	v_fma_f64 v[10:11], v[150:151], v[128:129], v[10:11]
	v_fma_f64 v[18:19], v[146:147], v[124:125], v[18:19]
	;; [unrolled: 1-line block ×3, first 2 shown]
	v_mul_f64 v[48:49], v[50:51], s[46:47]
	v_add_f64 v[52:53], v[32:33], -v[38:39]
	v_add_f64 v[30:31], v[30:31], v[22:23]
	v_mul_f64 v[63:64], v[50:51], s[52:53]
	v_add_f64 v[40:41], v[40:41], v[10:11]
	v_mul_f64 v[144:145], v[50:51], s[44:45]
	v_mul_f64 v[178:179], v[50:51], s[14:15]
	;; [unrolled: 1-line block ×5, first 2 shown]
	v_add_f64 v[30:31], v[30:31], v[16:17]
	v_mul_f64 v[54:55], v[52:53], s[52:53]
	v_add_f64 v[40:41], v[40:41], v[18:19]
	v_mul_f64 v[140:141], v[52:53], s[44:45]
	v_mul_f64 v[148:149], v[52:53], s[14:15]
	;; [unrolled: 1-line block ×4, first 2 shown]
	v_add_f64 v[30:31], v[30:31], v[8:9]
	v_add_f64 v[40:41], v[40:41], v[26:27]
	s_delay_alu instid0(VALU_DEP_2) | instskip(NEXT) | instid1(VALU_DEP_2)
	v_add_f64 v[30:31], v[30:31], v[2:3]
	v_add_f64 v[134:135], v[40:41], v[38:39]
	;; [unrolled: 1-line block ×3, first 2 shown]
	v_mul_f64 v[34:35], v[52:53], s[42:43]
	v_mul_f64 v[52:53], v[52:53], s[40:41]
	v_add_f64 v[30:31], v[30:31], v[172:173]
	s_delay_alu instid0(VALU_DEP_4)
	v_fma_f64 v[42:43], v[40:41], s[24:25], -v[46:47]
	v_fma_f64 v[46:47], v[40:41], s[24:25], v[46:47]
	v_fma_f64 v[56:57], v[40:41], s[16:17], -v[54:55]
	v_fma_f64 v[54:55], v[40:41], s[16:17], v[54:55]
	;; [unrolled: 2-line block ×6, first 2 shown]
	v_fma_f64 v[198:199], v[40:41], s[38:39], -v[52:53]
	v_add_f64 v[30:31], v[30:31], v[164:165]
	v_add_f64 v[42:43], v[136:137], v[42:43]
	v_add_f64 v[46:47], v[136:137], v[46:47]
	v_add_f64 v[56:57], v[136:137], v[56:57]
	v_add_f64 v[54:55], v[136:137], v[54:55]
	v_add_f64 v[142:143], v[136:137], v[142:143]
	v_add_f64 v[140:141], v[136:137], v[140:141]
	v_add_f64 v[150:151], v[136:137], v[150:151]
	v_add_f64 v[148:149], v[136:137], v[148:149]
	v_add_f64 v[184:185], v[136:137], v[184:185]
	v_add_f64 v[182:183], v[136:137], v[182:183]
	v_add_f64 v[192:193], v[136:137], v[192:193]
	v_add_f64 v[190:191], v[136:137], v[190:191]
	v_add_f64 v[198:199], v[136:137], v[198:199]
	v_add_f64 v[30:31], v[30:31], v[156:157]
	s_delay_alu instid0(VALU_DEP_1) | instskip(NEXT) | instid1(VALU_DEP_1)
	v_add_f64 v[30:31], v[30:31], v[158:159]
	v_add_f64 v[30:31], v[30:31], v[166:167]
	s_delay_alu instid0(VALU_DEP_1) | instskip(NEXT) | instid1(VALU_DEP_1)
	v_add_f64 v[30:31], v[30:31], v[174:175]
	v_add_f64 v[30:31], v[30:31], v[4:5]
	s_delay_alu instid0(VALU_DEP_1) | instskip(NEXT) | instid1(VALU_DEP_1)
	v_add_f64 v[30:31], v[30:31], v[14:15]
	v_add_f64 v[30:31], v[30:31], v[24:25]
	s_delay_alu instid0(VALU_DEP_1) | instskip(NEXT) | instid1(VALU_DEP_1)
	v_add_f64 v[30:31], v[30:31], v[28:29]
	v_add_f64 v[132:133], v[30:31], v[36:37]
	v_add_f64 v[30:31], v[32:33], v[38:39]
	v_fma_f64 v[32:33], v[40:41], s[34:35], -v[34:35]
	v_mul_f64 v[36:37], v[50:51], s[42:43]
	v_fma_f64 v[34:35], v[40:41], s[34:35], v[34:35]
	v_mul_f64 v[50:51], v[50:51], s[40:41]
	v_fma_f64 v[40:41], v[40:41], s[38:39], v[52:53]
	v_add_f64 v[52:53], v[20:21], v[26:27]
	v_add_f64 v[20:21], v[20:21], -v[26:27]
	v_fma_f64 v[44:45], v[30:31], s[24:25], v[48:49]
	v_add_f64 v[38:39], v[136:137], v[32:33]
	v_fma_f64 v[32:33], v[30:31], s[34:35], v[36:37]
	v_fma_f64 v[36:37], v[30:31], s[34:35], -v[36:37]
	v_fma_f64 v[48:49], v[30:31], s[24:25], -v[48:49]
	v_fma_f64 v[65:66], v[30:31], s[16:17], v[63:64]
	v_fma_f64 v[63:64], v[30:31], s[16:17], -v[63:64]
	v_fma_f64 v[146:147], v[30:31], s[0:1], v[144:145]
	;; [unrolled: 2-line block ×6, first 2 shown]
	v_fma_f64 v[30:31], v[30:31], s[38:39], -v[50:51]
	v_add_f64 v[50:51], v[22:23], v[28:29]
	v_mul_f64 v[26:27], v[20:21], s[46:47]
	v_add_f64 v[22:23], v[22:23], -v[28:29]
	v_add_f64 v[34:35], v[136:137], v[34:35]
	v_add_f64 v[40:41], v[136:137], v[40:41]
	;; [unrolled: 1-line block ×18, first 2 shown]
	v_fma_f64 v[28:29], v[50:51], s[24:25], -v[26:27]
	v_fma_f64 v[26:27], v[50:51], s[24:25], v[26:27]
	s_delay_alu instid0(VALU_DEP_2) | instskip(SKIP_1) | instid1(VALU_DEP_3)
	v_add_f64 v[28:29], v[28:29], v[38:39]
	v_mul_f64 v[38:39], v[22:23], s[46:47]
	v_add_f64 v[26:27], v[26:27], v[34:35]
	s_delay_alu instid0(VALU_DEP_2) | instskip(SKIP_1) | instid1(VALU_DEP_2)
	v_fma_f64 v[34:35], v[52:53], s[24:25], -v[38:39]
	v_fma_f64 v[136:137], v[52:53], s[24:25], v[38:39]
	v_add_f64 v[34:35], v[34:35], v[36:37]
	v_mul_f64 v[36:37], v[20:21], s[44:45]
	s_delay_alu instid0(VALU_DEP_3) | instskip(NEXT) | instid1(VALU_DEP_2)
	v_add_f64 v[32:33], v[136:137], v[32:33]
	v_fma_f64 v[38:39], v[50:51], s[0:1], -v[36:37]
	v_fma_f64 v[36:37], v[50:51], s[0:1], v[36:37]
	s_delay_alu instid0(VALU_DEP_2) | instskip(SKIP_1) | instid1(VALU_DEP_3)
	v_add_f64 v[38:39], v[38:39], v[42:43]
	v_mul_f64 v[42:43], v[22:23], s[44:45]
	v_add_f64 v[36:37], v[36:37], v[46:47]
	v_mul_f64 v[46:47], v[20:21], s[22:23]
	s_delay_alu instid0(VALU_DEP_3) | instskip(SKIP_1) | instid1(VALU_DEP_2)
	v_fma_f64 v[136:137], v[52:53], s[0:1], v[42:43]
	v_fma_f64 v[42:43], v[52:53], s[0:1], -v[42:43]
	v_add_f64 v[44:45], v[136:137], v[44:45]
	s_delay_alu instid0(VALU_DEP_2) | instskip(SKIP_2) | instid1(VALU_DEP_2)
	v_add_f64 v[42:43], v[42:43], v[48:49]
	v_fma_f64 v[48:49], v[50:51], s[20:21], -v[46:47]
	v_fma_f64 v[46:47], v[50:51], s[20:21], v[46:47]
	v_add_f64 v[48:49], v[48:49], v[56:57]
	v_mul_f64 v[56:57], v[22:23], s[22:23]
	s_delay_alu instid0(VALU_DEP_3) | instskip(NEXT) | instid1(VALU_DEP_2)
	v_add_f64 v[46:47], v[46:47], v[54:55]
	v_fma_f64 v[136:137], v[52:53], s[20:21], v[56:57]
	v_fma_f64 v[54:55], v[52:53], s[20:21], -v[56:57]
	v_mul_f64 v[56:57], v[20:21], s[40:41]
	s_delay_alu instid0(VALU_DEP_3) | instskip(NEXT) | instid1(VALU_DEP_3)
	v_add_f64 v[65:66], v[136:137], v[65:66]
	v_add_f64 v[54:55], v[54:55], v[63:64]
	s_delay_alu instid0(VALU_DEP_3) | instskip(SKIP_2) | instid1(VALU_DEP_3)
	v_fma_f64 v[63:64], v[50:51], s[38:39], -v[56:57]
	v_fma_f64 v[56:57], v[50:51], s[38:39], v[56:57]
	v_mul_f64 v[136:137], v[22:23], s[40:41]
	v_add_f64 v[63:64], v[63:64], v[142:143]
	s_delay_alu instid0(VALU_DEP_3) | instskip(SKIP_1) | instid1(VALU_DEP_4)
	v_add_f64 v[56:57], v[56:57], v[140:141]
	v_mul_f64 v[140:141], v[20:21], s[54:55]
	v_fma_f64 v[138:139], v[52:53], s[38:39], v[136:137]
	v_fma_f64 v[136:137], v[52:53], s[38:39], -v[136:137]
	s_delay_alu instid0(VALU_DEP_3) | instskip(SKIP_1) | instid1(VALU_DEP_3)
	v_fma_f64 v[142:143], v[50:51], s[26:27], -v[140:141]
	v_fma_f64 v[140:141], v[50:51], s[26:27], v[140:141]
	v_add_f64 v[136:137], v[136:137], v[144:145]
	v_mul_f64 v[144:145], v[22:23], s[54:55]
	v_add_f64 v[138:139], v[138:139], v[146:147]
	v_add_f64 v[142:143], v[142:143], v[150:151]
	;; [unrolled: 1-line block ×3, first 2 shown]
	v_mul_f64 v[148:149], v[20:21], s[50:51]
	v_fma_f64 v[146:147], v[52:53], s[26:27], v[144:145]
	v_fma_f64 v[144:145], v[52:53], s[26:27], -v[144:145]
	s_delay_alu instid0(VALU_DEP_3) | instskip(SKIP_1) | instid1(VALU_DEP_3)
	v_fma_f64 v[150:151], v[50:51], s[2:3], -v[148:149]
	v_fma_f64 v[148:149], v[50:51], s[2:3], v[148:149]
	v_add_f64 v[144:145], v[144:145], v[178:179]
	v_mul_f64 v[178:179], v[22:23], s[50:51]
	v_add_f64 v[146:147], v[146:147], v[180:181]
	v_add_f64 v[150:151], v[150:151], v[184:185]
	;; [unrolled: 1-line block ×3, first 2 shown]
	v_mul_f64 v[182:183], v[20:21], s[18:19]
	v_fma_f64 v[180:181], v[52:53], s[2:3], v[178:179]
	v_fma_f64 v[178:179], v[52:53], s[2:3], -v[178:179]
	v_mul_f64 v[20:21], v[20:21], s[36:37]
	s_delay_alu instid0(VALU_DEP_4) | instskip(SKIP_1) | instid1(VALU_DEP_4)
	v_fma_f64 v[184:185], v[50:51], s[16:17], -v[182:183]
	v_fma_f64 v[182:183], v[50:51], s[16:17], v[182:183]
	v_add_f64 v[178:179], v[178:179], v[186:187]
	v_mul_f64 v[186:187], v[22:23], s[18:19]
	v_mul_f64 v[22:23], v[22:23], s[36:37]
	v_add_f64 v[180:181], v[180:181], v[188:189]
	v_add_f64 v[184:185], v[184:185], v[192:193]
	;; [unrolled: 1-line block ×3, first 2 shown]
	v_fma_f64 v[190:191], v[50:51], s[34:35], -v[20:21]
	v_fma_f64 v[20:21], v[50:51], s[34:35], v[20:21]
	v_fma_f64 v[192:193], v[52:53], s[34:35], v[22:23]
	v_fma_f64 v[22:23], v[52:53], s[34:35], -v[22:23]
	v_fma_f64 v[188:189], v[52:53], s[16:17], v[186:187]
	v_fma_f64 v[186:187], v[52:53], s[16:17], -v[186:187]
	v_add_f64 v[190:191], v[190:191], v[198:199]
	v_add_f64 v[20:21], v[20:21], v[40:41]
	;; [unrolled: 1-line block ×3, first 2 shown]
	v_add_f64 v[12:13], v[12:13], -v[18:19]
	v_add_f64 v[22:23], v[22:23], v[30:31]
	v_add_f64 v[30:31], v[16:17], v[24:25]
	v_add_f64 v[16:17], v[16:17], -v[24:25]
	v_add_f64 v[186:187], v[186:187], v[194:195]
	v_add_f64 v[188:189], v[188:189], v[196:197]
	v_add_f64 v[192:193], v[192:193], v[200:201]
	v_mul_f64 v[18:19], v[12:13], s[52:53]
	s_delay_alu instid0(VALU_DEP_1) | instskip(SKIP_1) | instid1(VALU_DEP_2)
	v_fma_f64 v[24:25], v[30:31], s[16:17], -v[18:19]
	v_fma_f64 v[18:19], v[30:31], s[16:17], v[18:19]
	v_add_f64 v[24:25], v[24:25], v[28:29]
	v_mul_f64 v[28:29], v[16:17], s[52:53]
	s_delay_alu instid0(VALU_DEP_3) | instskip(NEXT) | instid1(VALU_DEP_2)
	v_add_f64 v[18:19], v[18:19], v[26:27]
	v_fma_f64 v[50:51], v[40:41], s[16:17], v[28:29]
	v_fma_f64 v[26:27], v[40:41], s[16:17], -v[28:29]
	v_mul_f64 v[28:29], v[12:13], s[22:23]
	s_delay_alu instid0(VALU_DEP_3) | instskip(NEXT) | instid1(VALU_DEP_3)
	v_add_f64 v[32:33], v[50:51], v[32:33]
	v_add_f64 v[26:27], v[26:27], v[34:35]
	s_delay_alu instid0(VALU_DEP_3) | instskip(SKIP_1) | instid1(VALU_DEP_2)
	v_fma_f64 v[34:35], v[30:31], s[20:21], -v[28:29]
	v_fma_f64 v[28:29], v[30:31], s[20:21], v[28:29]
	v_add_f64 v[34:35], v[34:35], v[38:39]
	v_mul_f64 v[38:39], v[16:17], s[22:23]
	s_delay_alu instid0(VALU_DEP_3) | instskip(NEXT) | instid1(VALU_DEP_2)
	v_add_f64 v[28:29], v[28:29], v[36:37]
	v_fma_f64 v[50:51], v[40:41], s[20:21], v[38:39]
	v_fma_f64 v[36:37], v[40:41], s[20:21], -v[38:39]
	v_mul_f64 v[38:39], v[12:13], s[56:57]
	s_delay_alu instid0(VALU_DEP_3) | instskip(NEXT) | instid1(VALU_DEP_3)
	v_add_f64 v[44:45], v[50:51], v[44:45]
	v_add_f64 v[36:37], v[36:37], v[42:43]
	s_delay_alu instid0(VALU_DEP_3) | instskip(SKIP_1) | instid1(VALU_DEP_2)
	v_fma_f64 v[42:43], v[30:31], s[38:39], -v[38:39]
	v_fma_f64 v[38:39], v[30:31], s[38:39], v[38:39]
	v_add_f64 v[42:43], v[42:43], v[48:49]
	v_mul_f64 v[48:49], v[16:17], s[56:57]
	s_delay_alu instid0(VALU_DEP_3) | instskip(NEXT) | instid1(VALU_DEP_2)
	v_add_f64 v[38:39], v[38:39], v[46:47]
	v_fma_f64 v[50:51], v[40:41], s[38:39], v[48:49]
	v_fma_f64 v[46:47], v[40:41], s[38:39], -v[48:49]
	v_mul_f64 v[48:49], v[12:13], s[50:51]
	s_delay_alu instid0(VALU_DEP_3) | instskip(NEXT) | instid1(VALU_DEP_3)
	v_add_f64 v[50:51], v[50:51], v[65:66]
	v_add_f64 v[46:47], v[46:47], v[54:55]
	s_delay_alu instid0(VALU_DEP_3) | instskip(SKIP_2) | instid1(VALU_DEP_3)
	v_fma_f64 v[52:53], v[30:31], s[2:3], -v[48:49]
	v_mul_f64 v[54:55], v[16:17], s[50:51]
	v_fma_f64 v[48:49], v[30:31], s[2:3], v[48:49]
	v_add_f64 v[52:53], v[52:53], v[63:64]
	s_delay_alu instid0(VALU_DEP_3) | instskip(NEXT) | instid1(VALU_DEP_3)
	v_fma_f64 v[63:64], v[40:41], s[2:3], v[54:55]
	v_add_f64 v[48:49], v[48:49], v[56:57]
	v_fma_f64 v[54:55], v[40:41], s[2:3], -v[54:55]
	v_mul_f64 v[56:57], v[12:13], s[28:29]
	s_delay_alu instid0(VALU_DEP_4) | instskip(NEXT) | instid1(VALU_DEP_3)
	v_add_f64 v[63:64], v[63:64], v[138:139]
	v_add_f64 v[54:55], v[54:55], v[136:137]
	s_delay_alu instid0(VALU_DEP_3) | instskip(SKIP_2) | instid1(VALU_DEP_3)
	v_fma_f64 v[65:66], v[30:31], s[24:25], -v[56:57]
	v_mul_f64 v[136:137], v[16:17], s[28:29]
	v_fma_f64 v[56:57], v[30:31], s[24:25], v[56:57]
	v_add_f64 v[65:66], v[65:66], v[142:143]
	s_delay_alu instid0(VALU_DEP_3) | instskip(NEXT) | instid1(VALU_DEP_3)
	v_fma_f64 v[138:139], v[40:41], s[24:25], v[136:137]
	v_add_f64 v[56:57], v[56:57], v[140:141]
	v_fma_f64 v[136:137], v[40:41], s[24:25], -v[136:137]
	v_mul_f64 v[140:141], v[12:13], s[42:43]
	s_delay_alu instid0(VALU_DEP_4) | instskip(NEXT) | instid1(VALU_DEP_3)
	v_add_f64 v[138:139], v[138:139], v[146:147]
	v_add_f64 v[136:137], v[136:137], v[144:145]
	s_delay_alu instid0(VALU_DEP_3) | instskip(SKIP_2) | instid1(VALU_DEP_3)
	v_fma_f64 v[142:143], v[30:31], s[34:35], -v[140:141]
	v_mul_f64 v[144:145], v[16:17], s[42:43]
	v_fma_f64 v[140:141], v[30:31], s[34:35], v[140:141]
	v_add_f64 v[142:143], v[142:143], v[150:151]
	s_delay_alu instid0(VALU_DEP_3) | instskip(NEXT) | instid1(VALU_DEP_3)
	v_fma_f64 v[146:147], v[40:41], s[34:35], v[144:145]
	v_add_f64 v[140:141], v[140:141], v[148:149]
	v_fma_f64 v[144:145], v[40:41], s[34:35], -v[144:145]
	v_mul_f64 v[148:149], v[12:13], s[44:45]
	v_mul_f64 v[12:13], v[12:13], s[30:31]
	v_add_f64 v[146:147], v[146:147], v[180:181]
	s_delay_alu instid0(VALU_DEP_4) | instskip(NEXT) | instid1(VALU_DEP_4)
	v_add_f64 v[144:145], v[144:145], v[178:179]
	v_fma_f64 v[150:151], v[30:31], s[0:1], -v[148:149]
	v_mul_f64 v[178:179], v[16:17], s[44:45]
	v_mul_f64 v[16:17], v[16:17], s[30:31]
	v_fma_f64 v[148:149], v[30:31], s[0:1], v[148:149]
	s_delay_alu instid0(VALU_DEP_4) | instskip(NEXT) | instid1(VALU_DEP_4)
	v_add_f64 v[150:151], v[150:151], v[184:185]
	v_fma_f64 v[180:181], v[40:41], s[0:1], v[178:179]
	s_delay_alu instid0(VALU_DEP_4)
	v_fma_f64 v[184:185], v[40:41], s[26:27], v[16:17]
	v_fma_f64 v[16:17], v[40:41], s[26:27], -v[16:17]
	v_add_f64 v[148:149], v[148:149], v[182:183]
	v_fma_f64 v[182:183], v[30:31], s[26:27], -v[12:13]
	v_fma_f64 v[12:13], v[30:31], s[26:27], v[12:13]
	v_fma_f64 v[178:179], v[40:41], s[0:1], -v[178:179]
	v_add_f64 v[180:181], v[180:181], v[188:189]
	v_add_f64 v[184:185], v[184:185], v[192:193]
	;; [unrolled: 1-line block ×4, first 2 shown]
	v_add_f64 v[6:7], v[6:7], -v[10:11]
	v_add_f64 v[12:13], v[12:13], v[20:21]
	v_add_f64 v[20:21], v[8:9], v[14:15]
	v_add_f64 v[8:9], v[8:9], -v[14:15]
	v_add_f64 v[178:179], v[178:179], v[186:187]
	v_add_f64 v[182:183], v[182:183], v[190:191]
	v_mul_f64 v[10:11], v[6:7], s[44:45]
	s_delay_alu instid0(VALU_DEP_4) | instskip(NEXT) | instid1(VALU_DEP_2)
	v_mul_f64 v[40:41], v[8:9], s[50:51]
	v_fma_f64 v[14:15], v[20:21], s[0:1], -v[10:11]
	v_fma_f64 v[10:11], v[20:21], s[0:1], v[10:11]
	s_delay_alu instid0(VALU_DEP_2) | instskip(SKIP_1) | instid1(VALU_DEP_3)
	v_add_f64 v[14:15], v[14:15], v[24:25]
	v_mul_f64 v[24:25], v[8:9], s[44:45]
	v_add_f64 v[10:11], v[10:11], v[18:19]
	s_delay_alu instid0(VALU_DEP_2) | instskip(SKIP_2) | instid1(VALU_DEP_3)
	v_fma_f64 v[30:31], v[22:23], s[0:1], v[24:25]
	v_fma_f64 v[18:19], v[22:23], s[0:1], -v[24:25]
	v_mul_f64 v[24:25], v[6:7], s[40:41]
	v_add_f64 v[30:31], v[30:31], v[32:33]
	s_delay_alu instid0(VALU_DEP_3) | instskip(NEXT) | instid1(VALU_DEP_3)
	v_add_f64 v[18:19], v[18:19], v[26:27]
	v_fma_f64 v[26:27], v[20:21], s[38:39], -v[24:25]
	v_mul_f64 v[32:33], v[8:9], s[40:41]
	v_fma_f64 v[24:25], v[20:21], s[38:39], v[24:25]
	s_delay_alu instid0(VALU_DEP_3) | instskip(NEXT) | instid1(VALU_DEP_3)
	v_add_f64 v[26:27], v[26:27], v[34:35]
	v_fma_f64 v[34:35], v[22:23], s[38:39], v[32:33]
	s_delay_alu instid0(VALU_DEP_3) | instskip(SKIP_2) | instid1(VALU_DEP_4)
	v_add_f64 v[24:25], v[24:25], v[28:29]
	v_fma_f64 v[28:29], v[22:23], s[38:39], -v[32:33]
	v_mul_f64 v[32:33], v[6:7], s[50:51]
	v_add_f64 v[34:35], v[34:35], v[44:45]
	s_delay_alu instid0(VALU_DEP_3) | instskip(NEXT) | instid1(VALU_DEP_3)
	v_add_f64 v[28:29], v[28:29], v[36:37]
	v_fma_f64 v[36:37], v[20:21], s[2:3], -v[32:33]
	v_fma_f64 v[32:33], v[20:21], s[2:3], v[32:33]
	s_delay_alu instid0(VALU_DEP_2) | instskip(SKIP_1) | instid1(VALU_DEP_3)
	v_add_f64 v[36:37], v[36:37], v[42:43]
	v_fma_f64 v[42:43], v[22:23], s[2:3], v[40:41]
	v_add_f64 v[32:33], v[32:33], v[38:39]
	v_fma_f64 v[38:39], v[22:23], s[2:3], -v[40:41]
	v_mul_f64 v[40:41], v[6:7], s[36:37]
	s_delay_alu instid0(VALU_DEP_4) | instskip(NEXT) | instid1(VALU_DEP_3)
	v_add_f64 v[42:43], v[42:43], v[50:51]
	v_add_f64 v[38:39], v[38:39], v[46:47]
	s_delay_alu instid0(VALU_DEP_3) | instskip(SKIP_2) | instid1(VALU_DEP_3)
	v_fma_f64 v[44:45], v[20:21], s[34:35], -v[40:41]
	v_mul_f64 v[46:47], v[8:9], s[36:37]
	v_fma_f64 v[40:41], v[20:21], s[34:35], v[40:41]
	v_add_f64 v[44:45], v[44:45], v[52:53]
	s_delay_alu instid0(VALU_DEP_3) | instskip(NEXT) | instid1(VALU_DEP_3)
	v_fma_f64 v[50:51], v[22:23], s[34:35], v[46:47]
	v_add_f64 v[40:41], v[40:41], v[48:49]
	v_fma_f64 v[46:47], v[22:23], s[34:35], -v[46:47]
	v_mul_f64 v[48:49], v[6:7], s[52:53]
	s_delay_alu instid0(VALU_DEP_4) | instskip(NEXT) | instid1(VALU_DEP_3)
	v_add_f64 v[50:51], v[50:51], v[63:64]
	v_add_f64 v[46:47], v[46:47], v[54:55]
	s_delay_alu instid0(VALU_DEP_3) | instskip(SKIP_2) | instid1(VALU_DEP_3)
	v_fma_f64 v[52:53], v[20:21], s[16:17], -v[48:49]
	v_mul_f64 v[54:55], v[8:9], s[52:53]
	v_fma_f64 v[48:49], v[20:21], s[16:17], v[48:49]
	v_add_f64 v[52:53], v[52:53], v[65:66]
	s_delay_alu instid0(VALU_DEP_3) | instskip(NEXT) | instid1(VALU_DEP_3)
	;; [unrolled: 13-line block ×3, first 2 shown]
	v_fma_f64 v[138:139], v[22:23], s[26:27], v[136:137]
	v_add_f64 v[56:57], v[56:57], v[140:141]
	v_fma_f64 v[136:137], v[22:23], s[26:27], -v[136:137]
	v_mul_f64 v[140:141], v[6:7], s[48:49]
	v_mul_f64 v[6:7], v[6:7], s[28:29]
	v_add_f64 v[138:139], v[138:139], v[146:147]
	s_delay_alu instid0(VALU_DEP_4) | instskip(NEXT) | instid1(VALU_DEP_4)
	v_add_f64 v[136:137], v[136:137], v[144:145]
	v_fma_f64 v[142:143], v[20:21], s[20:21], -v[140:141]
	v_mul_f64 v[144:145], v[8:9], s[48:49]
	v_mul_f64 v[8:9], v[8:9], s[28:29]
	v_fma_f64 v[140:141], v[20:21], s[20:21], v[140:141]
	s_delay_alu instid0(VALU_DEP_4) | instskip(NEXT) | instid1(VALU_DEP_4)
	v_add_f64 v[142:143], v[142:143], v[150:151]
	v_fma_f64 v[146:147], v[22:23], s[20:21], v[144:145]
	s_delay_alu instid0(VALU_DEP_4)
	v_fma_f64 v[150:151], v[22:23], s[24:25], v[8:9]
	v_fma_f64 v[8:9], v[22:23], s[24:25], -v[8:9]
	v_add_f64 v[140:141], v[140:141], v[148:149]
	v_fma_f64 v[148:149], v[20:21], s[24:25], -v[6:7]
	v_fma_f64 v[6:7], v[20:21], s[24:25], v[6:7]
	v_fma_f64 v[144:145], v[22:23], s[20:21], -v[144:145]
	v_add_f64 v[146:147], v[146:147], v[180:181]
	v_add_f64 v[150:151], v[150:151], v[184:185]
	;; [unrolled: 1-line block ×4, first 2 shown]
	v_add_f64 v[0:1], v[176:177], -v[0:1]
	v_add_f64 v[6:7], v[6:7], v[12:13]
	v_add_f64 v[12:13], v[2:3], v[4:5]
	v_add_f64 v[2:3], v[2:3], -v[4:5]
	v_add_f64 v[144:145], v[144:145], v[178:179]
	v_add_f64 v[148:149], v[148:149], v[182:183]
	;; [unrolled: 1-line block ×3, first 2 shown]
	v_mul_f64 v[4:5], v[0:1], s[14:15]
	s_delay_alu instid0(VALU_DEP_1) | instskip(SKIP_1) | instid1(VALU_DEP_2)
	v_fma_f64 v[20:21], v[12:13], s[2:3], -v[4:5]
	v_fma_f64 v[4:5], v[12:13], s[2:3], v[4:5]
	v_add_f64 v[14:15], v[20:21], v[14:15]
	v_mul_f64 v[20:21], v[2:3], s[14:15]
	s_delay_alu instid0(VALU_DEP_3) | instskip(NEXT) | instid1(VALU_DEP_2)
	v_add_f64 v[4:5], v[4:5], v[10:11]
	v_fma_f64 v[10:11], v[16:17], s[2:3], -v[20:21]
	v_fma_f64 v[22:23], v[16:17], s[2:3], v[20:21]
	s_delay_alu instid0(VALU_DEP_2) | instskip(SKIP_1) | instid1(VALU_DEP_3)
	v_add_f64 v[10:11], v[10:11], v[18:19]
	v_mul_f64 v[18:19], v[0:1], s[54:55]
	v_add_f64 v[22:23], v[22:23], v[30:31]
	s_delay_alu instid0(VALU_DEP_2) | instskip(SKIP_1) | instid1(VALU_DEP_2)
	v_fma_f64 v[20:21], v[12:13], s[26:27], -v[18:19]
	v_fma_f64 v[18:19], v[12:13], s[26:27], v[18:19]
	v_add_f64 v[20:21], v[20:21], v[26:27]
	v_mul_f64 v[26:27], v[2:3], s[54:55]
	s_delay_alu instid0(VALU_DEP_3) | instskip(NEXT) | instid1(VALU_DEP_2)
	v_add_f64 v[18:19], v[18:19], v[24:25]
	v_fma_f64 v[30:31], v[16:17], s[26:27], v[26:27]
	v_fma_f64 v[24:25], v[16:17], s[26:27], -v[26:27]
	v_mul_f64 v[26:27], v[0:1], s[28:29]
	s_delay_alu instid0(VALU_DEP_3) | instskip(NEXT) | instid1(VALU_DEP_3)
	v_add_f64 v[30:31], v[30:31], v[34:35]
	v_add_f64 v[24:25], v[24:25], v[28:29]
	s_delay_alu instid0(VALU_DEP_3) | instskip(SKIP_2) | instid1(VALU_DEP_3)
	v_fma_f64 v[28:29], v[12:13], s[24:25], -v[26:27]
	v_mul_f64 v[34:35], v[2:3], s[28:29]
	v_fma_f64 v[26:27], v[12:13], s[24:25], v[26:27]
	v_add_f64 v[28:29], v[28:29], v[36:37]
	s_delay_alu instid0(VALU_DEP_3) | instskip(NEXT) | instid1(VALU_DEP_3)
	v_fma_f64 v[36:37], v[16:17], s[24:25], v[34:35]
	v_add_f64 v[26:27], v[26:27], v[32:33]
	v_fma_f64 v[32:33], v[16:17], s[24:25], -v[34:35]
	v_mul_f64 v[34:35], v[0:1], s[52:53]
	s_delay_alu instid0(VALU_DEP_4) | instskip(SKIP_1) | instid1(VALU_DEP_4)
	v_add_f64 v[36:37], v[36:37], v[42:43]
	v_mul_f64 v[42:43], v[2:3], s[52:53]
	v_add_f64 v[32:33], v[32:33], v[38:39]
	s_delay_alu instid0(VALU_DEP_4) | instskip(SKIP_1) | instid1(VALU_DEP_2)
	v_fma_f64 v[38:39], v[12:13], s[16:17], -v[34:35]
	v_fma_f64 v[34:35], v[12:13], s[16:17], v[34:35]
	v_add_f64 v[38:39], v[38:39], v[44:45]
	v_fma_f64 v[44:45], v[16:17], s[16:17], v[42:43]
	s_delay_alu instid0(VALU_DEP_3) | instskip(SKIP_2) | instid1(VALU_DEP_4)
	v_add_f64 v[34:35], v[34:35], v[40:41]
	v_fma_f64 v[40:41], v[16:17], s[16:17], -v[42:43]
	v_mul_f64 v[42:43], v[0:1], s[40:41]
	v_add_f64 v[44:45], v[44:45], v[50:51]
	v_mul_f64 v[50:51], v[2:3], s[40:41]
	s_delay_alu instid0(VALU_DEP_4) | instskip(NEXT) | instid1(VALU_DEP_4)
	v_add_f64 v[40:41], v[40:41], v[46:47]
	v_fma_f64 v[46:47], v[12:13], s[38:39], -v[42:43]
	v_fma_f64 v[42:43], v[12:13], s[38:39], v[42:43]
	s_delay_alu instid0(VALU_DEP_2) | instskip(SKIP_1) | instid1(VALU_DEP_3)
	v_add_f64 v[46:47], v[46:47], v[52:53]
	v_fma_f64 v[52:53], v[16:17], s[38:39], v[50:51]
	v_add_f64 v[42:43], v[42:43], v[48:49]
	v_fma_f64 v[48:49], v[16:17], s[38:39], -v[50:51]
	v_mul_f64 v[50:51], v[0:1], s[8:9]
	s_delay_alu instid0(VALU_DEP_4) | instskip(SKIP_1) | instid1(VALU_DEP_4)
	v_add_f64 v[52:53], v[52:53], v[63:64]
	v_mul_f64 v[63:64], v[2:3], s[8:9]
	v_add_f64 v[48:49], v[48:49], v[54:55]
	s_delay_alu instid0(VALU_DEP_4) | instskip(SKIP_1) | instid1(VALU_DEP_2)
	v_fma_f64 v[54:55], v[12:13], s[0:1], -v[50:51]
	v_fma_f64 v[50:51], v[12:13], s[0:1], v[50:51]
	v_add_f64 v[54:55], v[54:55], v[65:66]
	v_fma_f64 v[65:66], v[16:17], s[0:1], v[63:64]
	s_delay_alu instid0(VALU_DEP_3)
	v_add_f64 v[50:51], v[50:51], v[56:57]
	v_fma_f64 v[56:57], v[16:17], s[0:1], -v[63:64]
	v_mul_f64 v[63:64], v[0:1], s[42:43]
	v_mul_f64 v[0:1], v[0:1], s[22:23]
	v_add_f64 v[65:66], v[65:66], v[138:139]
	v_mul_f64 v[138:139], v[2:3], s[42:43]
	v_add_f64 v[56:57], v[56:57], v[136:137]
	v_fma_f64 v[136:137], v[12:13], s[34:35], -v[63:64]
	v_fma_f64 v[63:64], v[12:13], s[34:35], v[63:64]
	v_mul_f64 v[2:3], v[2:3], s[22:23]
	s_delay_alu instid0(VALU_DEP_3)
	v_add_f64 v[136:137], v[136:137], v[142:143]
	v_fma_f64 v[142:143], v[16:17], s[34:35], v[138:139]
	v_fma_f64 v[138:139], v[16:17], s[34:35], -v[138:139]
	v_add_f64 v[63:64], v[63:64], v[140:141]
	v_fma_f64 v[140:141], v[12:13], s[20:21], -v[0:1]
	v_fma_f64 v[0:1], v[12:13], s[20:21], v[0:1]
	v_add_f64 v[12:13], v[172:173], -v[174:175]
	v_add_f64 v[142:143], v[142:143], v[146:147]
	v_add_f64 v[138:139], v[138:139], v[144:145]
	v_fma_f64 v[144:145], v[16:17], s[20:21], v[2:3]
	v_fma_f64 v[2:3], v[16:17], s[20:21], -v[2:3]
	v_add_f64 v[16:17], v[168:169], -v[170:171]
	v_add_f64 v[0:1], v[0:1], v[6:7]
	v_add_f64 v[6:7], v[172:173], v[174:175]
	;; [unrolled: 1-line block ×5, first 2 shown]
	v_mul_f64 v[146:147], v[16:17], s[22:23]
	v_add_f64 v[8:9], v[168:169], v[170:171]
	s_delay_alu instid0(VALU_DEP_2) | instskip(SKIP_1) | instid1(VALU_DEP_2)
	v_fma_f64 v[148:149], v[6:7], s[20:21], -v[146:147]
	v_fma_f64 v[146:147], v[6:7], s[20:21], v[146:147]
	v_add_f64 v[14:15], v[148:149], v[14:15]
	v_mul_f64 v[148:149], v[12:13], s[22:23]
	s_delay_alu instid0(VALU_DEP_3) | instskip(NEXT) | instid1(VALU_DEP_2)
	v_add_f64 v[4:5], v[146:147], v[4:5]
	v_fma_f64 v[146:147], v[8:9], s[20:21], -v[148:149]
	v_fma_f64 v[150:151], v[8:9], s[20:21], v[148:149]
	s_delay_alu instid0(VALU_DEP_2) | instskip(SKIP_1) | instid1(VALU_DEP_3)
	v_add_f64 v[10:11], v[146:147], v[10:11]
	v_mul_f64 v[146:147], v[16:17], s[50:51]
	v_add_f64 v[22:23], v[150:151], v[22:23]
	s_delay_alu instid0(VALU_DEP_2) | instskip(SKIP_1) | instid1(VALU_DEP_2)
	v_fma_f64 v[148:149], v[6:7], s[2:3], -v[146:147]
	v_fma_f64 v[146:147], v[6:7], s[2:3], v[146:147]
	v_add_f64 v[20:21], v[148:149], v[20:21]
	v_mul_f64 v[148:149], v[12:13], s[50:51]
	s_delay_alu instid0(VALU_DEP_3) | instskip(NEXT) | instid1(VALU_DEP_2)
	v_add_f64 v[18:19], v[146:147], v[18:19]
	v_fma_f64 v[146:147], v[8:9], s[2:3], -v[148:149]
	v_fma_f64 v[150:151], v[8:9], s[2:3], v[148:149]
	s_delay_alu instid0(VALU_DEP_2) | instskip(SKIP_1) | instid1(VALU_DEP_3)
	v_add_f64 v[24:25], v[146:147], v[24:25]
	v_mul_f64 v[146:147], v[16:17], s[42:43]
	v_add_f64 v[30:31], v[150:151], v[30:31]
	s_delay_alu instid0(VALU_DEP_2) | instskip(SKIP_1) | instid1(VALU_DEP_2)
	v_fma_f64 v[148:149], v[6:7], s[34:35], -v[146:147]
	v_fma_f64 v[146:147], v[6:7], s[34:35], v[146:147]
	v_add_f64 v[28:29], v[148:149], v[28:29]
	v_mul_f64 v[148:149], v[12:13], s[42:43]
	s_delay_alu instid0(VALU_DEP_3) | instskip(NEXT) | instid1(VALU_DEP_2)
	v_add_f64 v[26:27], v[146:147], v[26:27]
	v_fma_f64 v[146:147], v[8:9], s[34:35], -v[148:149]
	v_fma_f64 v[150:151], v[8:9], s[34:35], v[148:149]
	s_delay_alu instid0(VALU_DEP_2) | instskip(SKIP_1) | instid1(VALU_DEP_3)
	v_add_f64 v[32:33], v[146:147], v[32:33]
	v_mul_f64 v[146:147], v[16:17], s[30:31]
	v_add_f64 v[36:37], v[150:151], v[36:37]
	s_delay_alu instid0(VALU_DEP_2) | instskip(SKIP_1) | instid1(VALU_DEP_2)
	v_fma_f64 v[148:149], v[6:7], s[26:27], -v[146:147]
	v_fma_f64 v[146:147], v[6:7], s[26:27], v[146:147]
	v_add_f64 v[38:39], v[148:149], v[38:39]
	v_mul_f64 v[148:149], v[12:13], s[30:31]
	s_delay_alu instid0(VALU_DEP_3) | instskip(NEXT) | instid1(VALU_DEP_2)
	v_add_f64 v[34:35], v[146:147], v[34:35]
	v_fma_f64 v[146:147], v[8:9], s[26:27], -v[148:149]
	v_fma_f64 v[150:151], v[8:9], s[26:27], v[148:149]
	s_delay_alu instid0(VALU_DEP_2) | instskip(SKIP_1) | instid1(VALU_DEP_3)
	v_add_f64 v[40:41], v[146:147], v[40:41]
	v_mul_f64 v[146:147], v[16:17], s[8:9]
	v_add_f64 v[44:45], v[150:151], v[44:45]
	s_delay_alu instid0(VALU_DEP_2) | instskip(NEXT) | instid1(VALU_DEP_1)
	v_fma_f64 v[148:149], v[6:7], s[0:1], -v[146:147]
	v_add_f64 v[148:149], v[148:149], v[46:47]
	v_mul_f64 v[46:47], v[12:13], s[8:9]
	s_delay_alu instid0(VALU_DEP_1) | instskip(NEXT) | instid1(VALU_DEP_1)
	v_fma_f64 v[150:151], v[8:9], s[0:1], v[46:47]
	v_add_f64 v[150:151], v[150:151], v[52:53]
	v_fma_f64 v[52:53], v[6:7], s[0:1], v[146:147]
	s_delay_alu instid0(VALU_DEP_1) | instskip(SKIP_1) | instid1(VALU_DEP_1)
	v_add_f64 v[146:147], v[52:53], v[42:43]
	v_fma_f64 v[42:43], v[8:9], s[0:1], -v[46:47]
	v_add_f64 v[168:169], v[42:43], v[48:49]
	v_mul_f64 v[42:43], v[16:17], s[46:47]
	s_delay_alu instid0(VALU_DEP_1) | instskip(SKIP_1) | instid1(VALU_DEP_2)
	v_fma_f64 v[46:47], v[6:7], s[24:25], -v[42:43]
	v_fma_f64 v[42:43], v[6:7], s[24:25], v[42:43]
	v_add_f64 v[170:171], v[46:47], v[54:55]
	v_mul_f64 v[46:47], v[12:13], s[46:47]
	s_delay_alu instid0(VALU_DEP_3) | instskip(NEXT) | instid1(VALU_DEP_2)
	v_add_f64 v[172:173], v[42:43], v[50:51]
	v_fma_f64 v[42:43], v[8:9], s[24:25], -v[46:47]
	v_fma_f64 v[48:49], v[8:9], s[24:25], v[46:47]
	s_delay_alu instid0(VALU_DEP_2) | instskip(SKIP_2) | instid1(VALU_DEP_4)
	v_add_f64 v[174:175], v[42:43], v[56:57]
	v_mul_f64 v[42:43], v[16:17], s[40:41]
	v_mul_f64 v[16:17], v[16:17], s[18:19]
	v_add_f64 v[65:66], v[48:49], v[65:66]
	s_delay_alu instid0(VALU_DEP_3) | instskip(SKIP_1) | instid1(VALU_DEP_2)
	v_fma_f64 v[46:47], v[6:7], s[38:39], -v[42:43]
	v_fma_f64 v[42:43], v[6:7], s[38:39], v[42:43]
	v_add_f64 v[136:137], v[46:47], v[136:137]
	v_mul_f64 v[46:47], v[12:13], s[40:41]
	s_delay_alu instid0(VALU_DEP_3) | instskip(SKIP_1) | instid1(VALU_DEP_3)
	v_add_f64 v[63:64], v[42:43], v[63:64]
	v_mul_f64 v[12:13], v[12:13], s[18:19]
	v_fma_f64 v[42:43], v[8:9], s[38:39], -v[46:47]
	v_fma_f64 v[48:49], v[8:9], s[38:39], v[46:47]
	s_delay_alu instid0(VALU_DEP_2) | instskip(SKIP_2) | instid1(VALU_DEP_4)
	v_add_f64 v[138:139], v[42:43], v[138:139]
	v_fma_f64 v[42:43], v[6:7], s[16:17], -v[16:17]
	v_fma_f64 v[6:7], v[6:7], s[16:17], v[16:17]
	v_add_f64 v[142:143], v[48:49], v[142:143]
	s_delay_alu instid0(VALU_DEP_3) | instskip(SKIP_1) | instid1(VALU_DEP_4)
	v_add_f64 v[140:141], v[42:43], v[140:141]
	v_fma_f64 v[42:43], v[8:9], s[16:17], v[12:13]
	v_add_f64 v[0:1], v[6:7], v[0:1]
	v_fma_f64 v[6:7], v[8:9], s[16:17], -v[12:13]
	v_add_f64 v[12:13], v[160:161], -v[162:163]
	v_add_f64 v[8:9], v[164:165], -v[166:167]
	v_add_f64 v[144:145], v[42:43], v[144:145]
	s_delay_alu instid0(VALU_DEP_4) | instskip(SKIP_2) | instid1(VALU_DEP_1)
	v_add_f64 v[2:3], v[6:7], v[2:3]
	v_add_f64 v[6:7], v[164:165], v[166:167]
	v_mul_f64 v[16:17], v[12:13], s[30:31]
	v_fma_f64 v[42:43], v[6:7], s[26:27], -v[16:17]
	v_fma_f64 v[16:17], v[6:7], s[26:27], v[16:17]
	s_delay_alu instid0(VALU_DEP_2) | instskip(SKIP_1) | instid1(VALU_DEP_3)
	v_add_f64 v[160:161], v[42:43], v[14:15]
	v_mul_f64 v[14:15], v[8:9], s[30:31]
	v_add_f64 v[164:165], v[16:17], v[4:5]
	s_delay_alu instid0(VALU_DEP_2) | instskip(SKIP_1) | instid1(VALU_DEP_2)
	v_fma_f64 v[4:5], v[176:177], s[26:27], -v[14:15]
	v_fma_f64 v[42:43], v[176:177], s[26:27], v[14:15]
	v_add_f64 v[166:167], v[4:5], v[10:11]
	v_mul_f64 v[4:5], v[12:13], s[18:19]
	s_delay_alu instid0(VALU_DEP_3) | instskip(NEXT) | instid1(VALU_DEP_2)
	v_add_f64 v[162:163], v[42:43], v[22:23]
	v_fma_f64 v[10:11], v[6:7], s[16:17], -v[4:5]
	v_fma_f64 v[4:5], v[6:7], s[16:17], v[4:5]
	s_delay_alu instid0(VALU_DEP_2) | instskip(SKIP_1) | instid1(VALU_DEP_3)
	v_add_f64 v[178:179], v[10:11], v[20:21]
	v_mul_f64 v[10:11], v[8:9], s[18:19]
	v_add_f64 v[186:187], v[4:5], v[18:19]
	s_delay_alu instid0(VALU_DEP_2) | instskip(SKIP_1) | instid1(VALU_DEP_2)
	v_fma_f64 v[4:5], v[176:177], s[16:17], -v[10:11]
	v_fma_f64 v[14:15], v[176:177], s[16:17], v[10:11]
	v_add_f64 v[56:57], v[4:5], v[24:25]
	v_mul_f64 v[4:5], v[12:13], s[44:45]
	s_delay_alu instid0(VALU_DEP_3) | instskip(NEXT) | instid1(VALU_DEP_2)
	v_add_f64 v[184:185], v[14:15], v[30:31]
	v_fma_f64 v[10:11], v[6:7], s[0:1], -v[4:5]
	v_fma_f64 v[4:5], v[6:7], s[0:1], v[4:5]
	s_delay_alu instid0(VALU_DEP_2) | instskip(SKIP_1) | instid1(VALU_DEP_3)
	v_add_f64 v[54:55], v[10:11], v[28:29]
	v_mul_f64 v[10:11], v[8:9], s[44:45]
	v_add_f64 v[50:51], v[4:5], v[26:27]
	s_delay_alu instid0(VALU_DEP_2) | instskip(SKIP_1) | instid1(VALU_DEP_2)
	v_fma_f64 v[4:5], v[176:177], s[0:1], -v[10:11]
	v_fma_f64 v[14:15], v[176:177], s[0:1], v[10:11]
	v_add_f64 v[48:49], v[4:5], v[32:33]
	v_mul_f64 v[4:5], v[12:13], s[48:49]
	s_delay_alu instid0(VALU_DEP_3) | instskip(NEXT) | instid1(VALU_DEP_2)
	v_add_f64 v[52:53], v[14:15], v[36:37]
	v_fma_f64 v[10:11], v[6:7], s[20:21], -v[4:5]
	v_fma_f64 v[4:5], v[6:7], s[20:21], v[4:5]
	s_delay_alu instid0(VALU_DEP_2) | instskip(SKIP_1) | instid1(VALU_DEP_3)
	v_add_f64 v[46:47], v[10:11], v[38:39]
	v_mul_f64 v[10:11], v[8:9], s[48:49]
	v_add_f64 v[42:43], v[4:5], v[34:35]
	s_delay_alu instid0(VALU_DEP_2) | instskip(SKIP_1) | instid1(VALU_DEP_2)
	v_fma_f64 v[4:5], v[176:177], s[20:21], -v[10:11]
	v_fma_f64 v[14:15], v[176:177], s[20:21], v[10:11]
	v_add_f64 v[40:41], v[4:5], v[40:41]
	v_mul_f64 v[4:5], v[12:13], s[42:43]
	s_delay_alu instid0(VALU_DEP_3) | instskip(NEXT) | instid1(VALU_DEP_2)
	v_add_f64 v[44:45], v[14:15], v[44:45]
	v_fma_f64 v[10:11], v[6:7], s[34:35], -v[4:5]
	v_fma_f64 v[4:5], v[6:7], s[34:35], v[4:5]
	s_delay_alu instid0(VALU_DEP_2) | instskip(SKIP_1) | instid1(VALU_DEP_3)
	v_add_f64 v[38:39], v[10:11], v[148:149]
	v_mul_f64 v[10:11], v[8:9], s[42:43]
	v_add_f64 v[34:35], v[4:5], v[146:147]
	s_delay_alu instid0(VALU_DEP_2) | instskip(SKIP_1) | instid1(VALU_DEP_2)
	v_fma_f64 v[4:5], v[176:177], s[34:35], -v[10:11]
	v_fma_f64 v[14:15], v[176:177], s[34:35], v[10:11]
	v_add_f64 v[32:33], v[4:5], v[168:169]
	v_mul_f64 v[4:5], v[12:13], s[40:41]
	s_delay_alu instid0(VALU_DEP_3) | instskip(NEXT) | instid1(VALU_DEP_2)
	v_add_f64 v[36:37], v[14:15], v[150:151]
	v_fma_f64 v[10:11], v[6:7], s[38:39], -v[4:5]
	v_fma_f64 v[4:5], v[6:7], s[38:39], v[4:5]
	s_delay_alu instid0(VALU_DEP_2) | instskip(SKIP_1) | instid1(VALU_DEP_3)
	v_add_f64 v[30:31], v[10:11], v[170:171]
	v_mul_f64 v[10:11], v[8:9], s[40:41]
	v_add_f64 v[26:27], v[4:5], v[172:173]
	s_delay_alu instid0(VALU_DEP_2) | instskip(SKIP_1) | instid1(VALU_DEP_2)
	v_fma_f64 v[4:5], v[176:177], s[38:39], -v[10:11]
	v_fma_f64 v[14:15], v[176:177], s[38:39], v[10:11]
	v_add_f64 v[24:25], v[4:5], v[174:175]
	v_mul_f64 v[4:5], v[12:13], s[28:29]
	s_delay_alu instid0(VALU_DEP_3) | instskip(NEXT) | instid1(VALU_DEP_2)
	v_add_f64 v[28:29], v[14:15], v[65:66]
	v_fma_f64 v[10:11], v[6:7], s[24:25], -v[4:5]
	v_fma_f64 v[4:5], v[6:7], s[24:25], v[4:5]
	s_delay_alu instid0(VALU_DEP_2) | instskip(SKIP_1) | instid1(VALU_DEP_3)
	v_add_f64 v[22:23], v[10:11], v[136:137]
	v_mul_f64 v[10:11], v[8:9], s[28:29]
	v_add_f64 v[18:19], v[4:5], v[63:64]
	s_delay_alu instid0(VALU_DEP_2) | instskip(SKIP_1) | instid1(VALU_DEP_2)
	v_fma_f64 v[4:5], v[176:177], s[24:25], -v[10:11]
	v_fma_f64 v[14:15], v[176:177], s[24:25], v[10:11]
	v_add_f64 v[16:17], v[4:5], v[138:139]
	v_mul_f64 v[4:5], v[12:13], s[14:15]
	s_delay_alu instid0(VALU_DEP_3) | instskip(SKIP_1) | instid1(VALU_DEP_3)
	v_add_f64 v[20:21], v[14:15], v[142:143]
	v_add_f64 v[14:15], v[152:153], -v[154:155]
	v_fma_f64 v[10:11], v[6:7], s[2:3], -v[4:5]
	v_fma_f64 v[4:5], v[6:7], s[2:3], v[4:5]
	v_add_f64 v[6:7], v[156:157], v[158:159]
	s_delay_alu instid0(VALU_DEP_4) | instskip(NEXT) | instid1(VALU_DEP_4)
	v_mul_f64 v[63:64], v[14:15], s[40:41]
	v_add_f64 v[12:13], v[10:11], v[140:141]
	v_mul_f64 v[10:11], v[8:9], s[14:15]
	v_add_f64 v[4:5], v[4:5], v[0:1]
	s_delay_alu instid0(VALU_DEP_4) | instskip(SKIP_1) | instid1(VALU_DEP_4)
	v_fma_f64 v[65:66], v[6:7], s[38:39], -v[63:64]
	v_fma_f64 v[63:64], v[6:7], s[38:39], v[63:64]
	v_fma_f64 v[8:9], v[176:177], s[2:3], v[10:11]
	v_fma_f64 v[0:1], v[176:177], s[2:3], -v[10:11]
	v_add_f64 v[10:11], v[156:157], -v[158:159]
	v_add_f64 v[136:137], v[65:66], v[160:161]
	v_add_f64 v[180:181], v[63:64], v[164:165]
	;; [unrolled: 1-line block ×5, first 2 shown]
	v_mul_f64 v[65:66], v[10:11], s[40:41]
	s_delay_alu instid0(VALU_DEP_1) | instskip(SKIP_1) | instid1(VALU_DEP_2)
	v_fma_f64 v[63:64], v[2:3], s[38:39], -v[65:66]
	v_fma_f64 v[138:139], v[2:3], s[38:39], v[65:66]
	v_add_f64 v[182:183], v[63:64], v[166:167]
	v_mul_f64 v[63:64], v[14:15], s[36:37]
	s_delay_alu instid0(VALU_DEP_3) | instskip(NEXT) | instid1(VALU_DEP_2)
	v_add_f64 v[138:139], v[138:139], v[162:163]
	v_fma_f64 v[65:66], v[6:7], s[34:35], -v[63:64]
	v_fma_f64 v[63:64], v[6:7], s[34:35], v[63:64]
	s_delay_alu instid0(VALU_DEP_2) | instskip(SKIP_1) | instid1(VALU_DEP_1)
	v_add_f64 v[140:141], v[65:66], v[178:179]
	v_mul_f64 v[65:66], v[10:11], s[36:37]
	v_fma_f64 v[142:143], v[2:3], s[34:35], v[65:66]
	s_delay_alu instid0(VALU_DEP_1) | instskip(SKIP_2) | instid1(VALU_DEP_1)
	v_add_f64 v[142:143], v[142:143], v[184:185]
	v_add_f64 v[184:185], v[63:64], v[186:187]
	v_fma_f64 v[63:64], v[2:3], s[34:35], -v[65:66]
	v_add_f64 v[186:187], v[63:64], v[56:57]
	v_mul_f64 v[56:57], v[14:15], s[30:31]
	s_delay_alu instid0(VALU_DEP_1) | instskip(NEXT) | instid1(VALU_DEP_1)
	v_fma_f64 v[63:64], v[6:7], s[26:27], -v[56:57]
	v_add_f64 v[148:149], v[63:64], v[54:55]
	v_mul_f64 v[54:55], v[10:11], s[30:31]
	s_delay_alu instid0(VALU_DEP_1) | instskip(NEXT) | instid1(VALU_DEP_1)
	v_fma_f64 v[63:64], v[2:3], s[26:27], v[54:55]
	v_add_f64 v[150:151], v[63:64], v[52:53]
	v_fma_f64 v[52:53], v[6:7], s[26:27], v[56:57]
	s_delay_alu instid0(VALU_DEP_1) | instskip(SKIP_1) | instid1(VALU_DEP_1)
	v_add_f64 v[144:145], v[52:53], v[50:51]
	v_fma_f64 v[50:51], v[2:3], s[26:27], -v[54:55]
	v_add_f64 v[146:147], v[50:51], v[48:49]
	v_mul_f64 v[48:49], v[14:15], s[28:29]
	s_delay_alu instid0(VALU_DEP_1) | instskip(NEXT) | instid1(VALU_DEP_1)
	v_fma_f64 v[50:51], v[6:7], s[24:25], -v[48:49]
	v_add_f64 v[152:153], v[50:51], v[46:47]
	v_mul_f64 v[46:47], v[10:11], s[28:29]
	s_delay_alu instid0(VALU_DEP_1) | instskip(NEXT) | instid1(VALU_DEP_1)
	v_fma_f64 v[50:51], v[2:3], s[24:25], v[46:47]
	v_add_f64 v[154:155], v[50:51], v[44:45]
	v_fma_f64 v[44:45], v[6:7], s[24:25], v[48:49]
	s_delay_alu instid0(VALU_DEP_1) | instskip(SKIP_1) | instid1(VALU_DEP_1)
	;; [unrolled: 13-line block ×4, first 2 shown]
	v_add_f64 v[172:173], v[28:29], v[26:27]
	v_fma_f64 v[26:27], v[2:3], s[16:17], -v[30:31]
	v_add_f64 v[174:175], v[26:27], v[24:25]
	v_mul_f64 v[24:25], v[14:15], s[14:15]
	s_delay_alu instid0(VALU_DEP_1) | instskip(NEXT) | instid1(VALU_DEP_1)
	v_fma_f64 v[26:27], v[6:7], s[2:3], -v[24:25]
	v_add_f64 v[176:177], v[26:27], v[22:23]
	v_mul_f64 v[22:23], v[10:11], s[14:15]
	v_mul_f64 v[10:11], v[10:11], s[8:9]
	s_delay_alu instid0(VALU_DEP_2) | instskip(NEXT) | instid1(VALU_DEP_1)
	v_fma_f64 v[26:27], v[2:3], s[2:3], v[22:23]
	v_add_f64 v[178:179], v[26:27], v[20:21]
	v_fma_f64 v[20:21], v[6:7], s[2:3], v[24:25]
	s_delay_alu instid0(VALU_DEP_1) | instskip(SKIP_1) | instid1(VALU_DEP_1)
	v_add_f64 v[188:189], v[20:21], v[18:19]
	v_fma_f64 v[18:19], v[2:3], s[2:3], -v[22:23]
	v_add_f64 v[190:191], v[18:19], v[16:17]
	v_mul_f64 v[16:17], v[14:15], s[8:9]
	s_delay_alu instid0(VALU_DEP_1) | instskip(SKIP_1) | instid1(VALU_DEP_2)
	v_fma_f64 v[14:15], v[6:7], s[0:1], -v[16:17]
	v_fma_f64 v[6:7], v[6:7], s[0:1], v[16:17]
	v_add_f64 v[12:13], v[14:15], v[12:13]
	v_fma_f64 v[14:15], v[2:3], s[0:1], v[10:11]
	v_fma_f64 v[2:3], v[2:3], s[0:1], -v[10:11]
	s_delay_alu instid0(VALU_DEP_4) | instskip(NEXT) | instid1(VALU_DEP_3)
	v_add_f64 v[4:5], v[6:7], v[4:5]
	v_add_f64 v[14:15], v[14:15], v[8:9]
	s_delay_alu instid0(VALU_DEP_3) | instskip(SKIP_1) | instid1(VALU_DEP_1)
	v_add_f64 v[6:7], v[2:3], v[0:1]
	v_and_b32_e32 v0, 0xffff, v61
	v_mul_u32_u24_e32 v0, 0x121, v0
	s_delay_alu instid0(VALU_DEP_1)
	v_add_lshl_u32 v224, v0, v62, 4
	ds_store_b128 v224, v[132:135]
	ds_store_b128 v224, v[136:139] offset:272
	ds_store_b128 v224, v[140:143] offset:544
	;; [unrolled: 1-line block ×16, first 2 shown]
	s_waitcnt lgkmcnt(0)
	s_barrier
	buffer_gl0_inv
	ds_load_b128 v[204:207], v255
	ds_load_b128 v[144:147], v255 offset:4624
	ds_load_b128 v[140:143], v255 offset:9248
	;; [unrolled: 1-line block ×14, first 2 shown]
	s_and_saveexec_b32 s0, vcc_lo
	s_cbranch_execz .LBB0_3
; %bb.2:
	ds_load_b128 v[184:187], v255 offset:4080
	ds_load_b128 v[180:183], v255 offset:8704
	;; [unrolled: 1-line block ×3, first 2 shown]
.LBB0_3:
	s_or_b32 exec_lo, exec_lo, s0
	scratch_load_b32 v11, off, off          ; 4-byte Folded Reload
	s_mov_b32 s3, 0xbfebb67a
	s_waitcnt vmcnt(0)
	v_lshlrev_b32_e32 v10, 5, v11
	s_delay_alu instid0(VALU_DEP_1) | instskip(NEXT) | instid1(VALU_DEP_1)
	v_add_co_u32 v2, s0, s10, v10
	v_add_co_ci_u32_e64 v3, null, s11, 0, s0
	s_delay_alu instid0(VALU_DEP_2) | instskip(NEXT) | instid1(VALU_DEP_1)
	v_add_co_u32 v0, s0, 0x1000, v2
	v_add_co_ci_u32_e64 v1, s0, 0, v3, s0
	v_add_co_u32 v2, s0, 0x1100, v2
	s_delay_alu instid0(VALU_DEP_1)
	v_add_co_ci_u32_e64 v3, s0, 0, v3, s0
	s_clause 0x1
	global_load_b128 v[6:9], v[0:1], off offset:256
	global_load_b128 v[14:17], v[2:3], off offset:16
	s_waitcnt vmcnt(1) lgkmcnt(13)
	v_mul_f64 v[0:1], v[146:147], v[8:9]
	scratch_store_b128 off, v[6:9], off offset:332 ; 16-byte Folded Spill
	s_waitcnt vmcnt(0)
	scratch_store_b128 off, v[14:17], off offset:348 ; 16-byte Folded Spill
	v_fma_f64 v[4:5], v[144:145], v[6:7], -v[0:1]
	v_mul_f64 v[0:1], v[144:145], v[8:9]
	s_delay_alu instid0(VALU_DEP_1) | instskip(SKIP_2) | instid1(VALU_DEP_1)
	v_fma_f64 v[6:7], v[146:147], v[6:7], v[0:1]
	s_waitcnt lgkmcnt(12)
	v_mul_f64 v[0:1], v[142:143], v[16:17]
	v_fma_f64 v[12:13], v[140:141], v[14:15], -v[0:1]
	v_mul_f64 v[0:1], v[140:141], v[16:17]
	s_delay_alu instid0(VALU_DEP_1) | instskip(SKIP_1) | instid1(VALU_DEP_1)
	v_fma_f64 v[8:9], v[142:143], v[14:15], v[0:1]
	v_add_nc_u32_e32 v0, 0x660, v10
	v_add_co_u32 v2, s0, s10, v0
	s_delay_alu instid0(VALU_DEP_1) | instskip(NEXT) | instid1(VALU_DEP_2)
	v_add_co_ci_u32_e64 v3, null, s11, 0, s0
	v_add_co_u32 v0, s0, 0x1000, v2
	s_delay_alu instid0(VALU_DEP_1) | instskip(SKIP_1) | instid1(VALU_DEP_1)
	v_add_co_ci_u32_e64 v1, s0, 0, v3, s0
	v_add_co_u32 v2, s0, 0x1100, v2
	v_add_co_ci_u32_e64 v3, s0, 0, v3, s0
	s_clause 0x1
	global_load_b128 v[140:143], v[0:1], off offset:256
	global_load_b128 v[144:147], v[2:3], off offset:16
	s_waitcnt vmcnt(1) lgkmcnt(10)
	v_mul_f64 v[0:1], v[154:155], v[142:143]
	s_delay_alu instid0(VALU_DEP_1) | instskip(SKIP_1) | instid1(VALU_DEP_2)
	v_fma_f64 v[24:25], v[152:153], v[140:141], -v[0:1]
	v_mul_f64 v[0:1], v[152:153], v[142:143]
	v_add_f64 v[30:31], v[200:201], v[24:25]
	s_delay_alu instid0(VALU_DEP_2) | instskip(SKIP_2) | instid1(VALU_DEP_2)
	v_fma_f64 v[20:21], v[154:155], v[140:141], v[0:1]
	s_waitcnt vmcnt(0) lgkmcnt(9)
	v_mul_f64 v[0:1], v[150:151], v[146:147]
	v_add_f64 v[28:29], v[202:203], v[20:21]
	s_delay_alu instid0(VALU_DEP_2) | instskip(SKIP_1) | instid1(VALU_DEP_1)
	v_fma_f64 v[26:27], v[148:149], v[144:145], -v[0:1]
	v_mul_f64 v[0:1], v[148:149], v[146:147]
	v_fma_f64 v[22:23], v[150:151], v[144:145], v[0:1]
	v_add_nc_u32_e32 v0, 0xcc0, v10
	s_delay_alu instid0(VALU_DEP_1) | instskip(NEXT) | instid1(VALU_DEP_1)
	v_add_co_u32 v2, s0, s10, v0
	v_add_co_ci_u32_e64 v3, null, s11, 0, s0
	s_delay_alu instid0(VALU_DEP_2) | instskip(NEXT) | instid1(VALU_DEP_1)
	v_add_co_u32 v0, s0, 0x1000, v2
	v_add_co_ci_u32_e64 v1, s0, 0, v3, s0
	v_add_co_u32 v2, s0, 0x1100, v2
	s_delay_alu instid0(VALU_DEP_1)
	v_add_co_ci_u32_e64 v3, s0, 0, v3, s0
	s_clause 0x1
	global_load_b128 v[148:151], v[0:1], off offset:256
	global_load_b128 v[152:155], v[2:3], off offset:16
	v_add_f64 v[40:41], v[20:21], -v[22:23]
	s_waitcnt vmcnt(1) lgkmcnt(7)
	v_mul_f64 v[0:1], v[162:163], v[150:151]
	s_delay_alu instid0(VALU_DEP_1) | instskip(SKIP_1) | instid1(VALU_DEP_2)
	v_fma_f64 v[36:37], v[160:161], v[148:149], -v[0:1]
	v_mul_f64 v[0:1], v[160:161], v[150:151]
	v_add_f64 v[42:43], v[196:197], v[36:37]
	s_delay_alu instid0(VALU_DEP_2) | instskip(SKIP_2) | instid1(VALU_DEP_1)
	v_fma_f64 v[32:33], v[162:163], v[148:149], v[0:1]
	s_waitcnt vmcnt(0) lgkmcnt(6)
	v_mul_f64 v[0:1], v[158:159], v[154:155]
	v_fma_f64 v[38:39], v[156:157], v[152:153], -v[0:1]
	v_mul_f64 v[0:1], v[156:157], v[154:155]
	s_delay_alu instid0(VALU_DEP_1) | instskip(SKIP_1) | instid1(VALU_DEP_1)
	v_fma_f64 v[34:35], v[158:159], v[152:153], v[0:1]
	v_add_nc_u32_e32 v0, 0x1320, v10
	v_add_co_u32 v2, s0, s10, v0
	s_delay_alu instid0(VALU_DEP_1) | instskip(NEXT) | instid1(VALU_DEP_2)
	v_add_co_ci_u32_e64 v3, null, s11, 0, s0
	v_add_co_u32 v0, s0, 0x1000, v2
	s_delay_alu instid0(VALU_DEP_1) | instskip(SKIP_1) | instid1(VALU_DEP_1)
	v_add_co_ci_u32_e64 v1, s0, 0, v3, s0
	v_add_co_u32 v2, s0, 0x1100, v2
	v_add_co_ci_u32_e64 v3, s0, 0, v3, s0
	s_clause 0x1
	global_load_b128 v[156:159], v[0:1], off offset:256
	global_load_b128 v[160:163], v[2:3], off offset:16
	v_add_f64 v[52:53], v[32:33], -v[34:35]
	s_waitcnt vmcnt(1) lgkmcnt(4)
	v_mul_f64 v[0:1], v[178:179], v[158:159]
	s_delay_alu instid0(VALU_DEP_1) | instskip(SKIP_1) | instid1(VALU_DEP_2)
	v_fma_f64 v[48:49], v[176:177], v[156:157], -v[0:1]
	v_mul_f64 v[0:1], v[176:177], v[158:159]
	v_add_f64 v[54:55], v[192:193], v[48:49]
	s_delay_alu instid0(VALU_DEP_2) | instskip(SKIP_2) | instid1(VALU_DEP_1)
	v_fma_f64 v[44:45], v[178:179], v[156:157], v[0:1]
	s_waitcnt vmcnt(0) lgkmcnt(3)
	v_mul_f64 v[0:1], v[174:175], v[162:163]
	v_fma_f64 v[50:51], v[172:173], v[160:161], -v[0:1]
	v_mul_f64 v[0:1], v[172:173], v[162:163]
	s_delay_alu instid0(VALU_DEP_1) | instskip(SKIP_1) | instid1(VALU_DEP_1)
	v_fma_f64 v[46:47], v[174:175], v[160:161], v[0:1]
	v_add_nc_u32_e32 v0, 0x1980, v10
	v_add_co_u32 v2, s0, s10, v0
	s_delay_alu instid0(VALU_DEP_1) | instskip(NEXT) | instid1(VALU_DEP_2)
	v_add_co_ci_u32_e64 v3, null, s11, 0, s0
	v_add_co_u32 v0, s0, 0x1000, v2
	s_delay_alu instid0(VALU_DEP_1) | instskip(SKIP_1) | instid1(VALU_DEP_1)
	v_add_co_ci_u32_e64 v1, s0, 0, v3, s0
	v_add_co_u32 v2, s0, 0x1100, v2
	v_add_co_ci_u32_e64 v3, s0, 0, v3, s0
	s_clause 0x1
	global_load_b128 v[172:175], v[0:1], off offset:256
	global_load_b128 v[176:179], v[2:3], off offset:16
	v_add_f64 v[66:67], v[44:45], -v[46:47]
	s_waitcnt vmcnt(1) lgkmcnt(1)
	v_mul_f64 v[0:1], v[170:171], v[174:175]
	s_delay_alu instid0(VALU_DEP_1) | instskip(SKIP_1) | instid1(VALU_DEP_1)
	v_fma_f64 v[56:57], v[168:169], v[172:173], -v[0:1]
	v_mul_f64 v[0:1], v[168:169], v[174:175]
	v_fma_f64 v[60:61], v[170:171], v[172:173], v[0:1]
	s_waitcnt vmcnt(0) lgkmcnt(0)
	v_mul_f64 v[0:1], v[166:167], v[178:179]
	s_delay_alu instid0(VALU_DEP_1) | instskip(SKIP_2) | instid1(VALU_DEP_2)
	v_fma_f64 v[64:65], v[164:165], v[176:177], -v[0:1]
	v_mul_f64 v[0:1], v[164:165], v[178:179]
	v_add_f64 v[164:165], v[188:189], v[56:57]
	v_fma_f64 v[62:63], v[166:167], v[176:177], v[0:1]
	v_add_co_u32 v0, s0, 0xff, v11
	s_delay_alu instid0(VALU_DEP_1) | instskip(SKIP_1) | instid1(VALU_DEP_1)
	v_add_co_ci_u32_e64 v1, null, 0, 0, s0
	v_add_co_u32 v2, s0, 0xffffffde, v11
	v_add_co_ci_u32_e64 v3, null, 0, -1, s0
	v_add_f64 v[10:11], v[4:5], v[12:13]
	s_delay_alu instid0(VALU_DEP_2) | instskip(NEXT) | instid1(VALU_DEP_1)
	v_dual_cndmask_b32 v0, v2, v0 :: v_dual_cndmask_b32 v1, v3, v1
	v_lshlrev_b64 v[0:1], 5, v[0:1]
	s_delay_alu instid0(VALU_DEP_1) | instskip(NEXT) | instid1(VALU_DEP_1)
	v_add_co_u32 v2, s0, s10, v0
	v_add_co_ci_u32_e64 v3, s0, s11, v1, s0
	s_delay_alu instid0(VALU_DEP_2) | instskip(NEXT) | instid1(VALU_DEP_1)
	v_add_co_u32 v0, s0, 0x1000, v2
	v_add_co_ci_u32_e64 v1, s0, 0, v3, s0
	v_add_co_u32 v2, s0, 0x1100, v2
	s_delay_alu instid0(VALU_DEP_1)
	v_add_co_ci_u32_e64 v3, s0, 0, v3, s0
	s_clause 0x1
	global_load_b128 v[14:17], v[0:1], off offset:256
	global_load_b128 v[68:71], v[2:3], off offset:16
	s_mov_b32 s0, 0xe8584caa
	s_mov_b32 s1, 0x3febb67a
	;; [unrolled: 1-line block ×3, first 2 shown]
	v_add_f64 v[166:167], v[60:61], -v[62:63]
	s_waitcnt vmcnt(1)
	v_mul_f64 v[0:1], v[182:183], v[16:17]
	v_mul_f64 v[2:3], v[180:181], v[16:17]
	scratch_store_b128 off, v[14:17], off offset:428 ; 16-byte Folded Spill
	s_waitcnt vmcnt(0)
	scratch_store_b128 off, v[68:71], off offset:444 ; 16-byte Folded Spill
	v_add_f64 v[16:17], v[204:205], v[4:5]
	v_add_f64 v[4:5], v[4:5], -v[12:13]
	v_fma_f64 v[0:1], v[180:181], v[14:15], -v[0:1]
	v_fma_f64 v[2:3], v[182:183], v[14:15], v[2:3]
	v_fma_f64 v[14:15], v[10:11], -0.5, v[204:205]
	v_add_f64 v[10:11], v[6:7], v[8:9]
	s_delay_alu instid0(VALU_DEP_1) | instskip(SKIP_2) | instid1(VALU_DEP_2)
	v_fma_f64 v[18:19], v[10:11], -0.5, v[206:207]
	v_add_f64 v[10:11], v[206:207], v[6:7]
	v_add_f64 v[6:7], v[6:7], -v[8:9]
	v_add_f64 v[10:11], v[10:11], v[8:9]
	v_add_f64 v[8:9], v[16:17], v[12:13]
	s_delay_alu instid0(VALU_DEP_3)
	v_fma_f64 v[12:13], v[6:7], s[0:1], v[14:15]
	v_fma_f64 v[16:17], v[6:7], s[2:3], v[14:15]
	;; [unrolled: 1-line block ×4, first 2 shown]
	v_add_f64 v[4:5], v[24:25], v[26:27]
	v_add_f64 v[6:7], v[20:21], v[22:23]
	;; [unrolled: 1-line block ×3, first 2 shown]
	v_add_f64 v[30:31], v[24:25], -v[26:27]
	v_add_f64 v[22:23], v[28:29], v[22:23]
	v_fma_f64 v[4:5], v[4:5], -0.5, v[200:201]
	v_fma_f64 v[6:7], v[6:7], -0.5, v[202:203]
	s_delay_alu instid0(VALU_DEP_2) | instskip(SKIP_1) | instid1(VALU_DEP_3)
	v_fma_f64 v[24:25], v[40:41], s[0:1], v[4:5]
	v_fma_f64 v[28:29], v[40:41], s[2:3], v[4:5]
	;; [unrolled: 1-line block ×4, first 2 shown]
	v_add_f64 v[4:5], v[36:37], v[38:39]
	v_add_f64 v[6:7], v[32:33], v[34:35]
	;; [unrolled: 1-line block ×4, first 2 shown]
	v_add_f64 v[42:43], v[36:37], -v[38:39]
	v_fma_f64 v[4:5], v[4:5], -0.5, v[196:197]
	v_fma_f64 v[6:7], v[6:7], -0.5, v[198:199]
	v_add_f64 v[34:35], v[40:41], v[34:35]
	s_delay_alu instid0(VALU_DEP_3) | instskip(SKIP_1) | instid1(VALU_DEP_4)
	v_fma_f64 v[36:37], v[52:53], s[0:1], v[4:5]
	v_fma_f64 v[40:41], v[52:53], s[2:3], v[4:5]
	;; [unrolled: 1-line block ×4, first 2 shown]
	v_add_f64 v[4:5], v[48:49], v[50:51]
	v_add_f64 v[6:7], v[44:45], v[46:47]
	;; [unrolled: 1-line block ×4, first 2 shown]
	v_add_f64 v[54:55], v[48:49], -v[50:51]
	v_fma_f64 v[4:5], v[4:5], -0.5, v[192:193]
	v_fma_f64 v[6:7], v[6:7], -0.5, v[194:195]
	v_add_f64 v[46:47], v[52:53], v[46:47]
	s_delay_alu instid0(VALU_DEP_3) | instskip(SKIP_1) | instid1(VALU_DEP_4)
	v_fma_f64 v[48:49], v[66:67], s[0:1], v[4:5]
	v_fma_f64 v[52:53], v[66:67], s[2:3], v[4:5]
	;; [unrolled: 1-line block ×4, first 2 shown]
	v_add_f64 v[4:5], v[56:57], v[64:65]
	v_add_f64 v[6:7], v[60:61], v[62:63]
	;; [unrolled: 1-line block ×3, first 2 shown]
	v_add_f64 v[56:57], v[56:57], -v[64:65]
	v_add_f64 v[60:61], v[164:165], v[64:65]
	v_fma_f64 v[4:5], v[4:5], -0.5, v[188:189]
	v_fma_f64 v[6:7], v[6:7], -0.5, v[190:191]
	v_add_f64 v[62:63], v[66:67], v[62:63]
	s_delay_alu instid0(VALU_DEP_3) | instskip(SKIP_1) | instid1(VALU_DEP_4)
	v_fma_f64 v[64:65], v[166:167], s[0:1], v[4:5]
	v_fma_f64 v[180:181], v[166:167], s[2:3], v[4:5]
	;; [unrolled: 1-line block ×4, first 2 shown]
	v_mul_f64 v[4:5], v[210:211], v[70:71]
	v_mul_f64 v[6:7], v[208:209], v[70:71]
	ds_store_b128 v255, v[8:11]
	ds_store_b128 v255, v[20:23] offset:816
	ds_store_b128 v255, v[32:35] offset:1632
	;; [unrolled: 1-line block ×14, first 2 shown]
	v_fma_f64 v[4:5], v[208:209], v[68:69], -v[4:5]
	v_fma_f64 v[6:7], v[210:211], v[68:69], v[6:7]
	s_delay_alu instid0(VALU_DEP_2) | instskip(NEXT) | instid1(VALU_DEP_2)
	v_add_f64 v[8:9], v[0:1], v[4:5]
	v_add_f64 v[10:11], v[2:3], v[6:7]
	v_add_f64 v[12:13], v[2:3], -v[6:7]
	v_add_f64 v[14:15], v[0:1], -v[4:5]
	s_delay_alu instid0(VALU_DEP_4) | instskip(NEXT) | instid1(VALU_DEP_4)
	v_fma_f64 v[8:9], v[8:9], -0.5, v[184:185]
	v_fma_f64 v[10:11], v[10:11], -0.5, v[186:187]
	s_delay_alu instid0(VALU_DEP_2) | instskip(NEXT) | instid1(VALU_DEP_2)
	v_fma_f64 v[16:17], v[12:13], s[2:3], v[8:9]
	v_fma_f64 v[18:19], v[14:15], s[0:1], v[10:11]
	scratch_store_b128 off, v[16:19], off offset:4 ; 16-byte Folded Spill
	s_and_saveexec_b32 s2, vcc_lo
	s_cbranch_execz .LBB0_5
; %bb.4:
	v_add_f64 v[16:17], v[186:187], v[2:3]
	v_add_f64 v[0:1], v[184:185], v[0:1]
	v_mul_f64 v[14:15], v[14:15], s[0:1]
	v_mul_f64 v[12:13], v[12:13], s[0:1]
	s_delay_alu instid0(VALU_DEP_4) | instskip(NEXT) | instid1(VALU_DEP_4)
	v_add_f64 v[6:7], v[16:17], v[6:7]
	v_add_f64 v[4:5], v[0:1], v[4:5]
	s_delay_alu instid0(VALU_DEP_4) | instskip(NEXT) | instid1(VALU_DEP_4)
	v_add_f64 v[2:3], v[10:11], -v[14:15]
	v_add_f64 v[0:1], v[12:13], v[8:9]
	ds_store_b128 v255, v[4:7] offset:4080
	ds_store_b128 v255, v[0:3] offset:8704
	scratch_load_b128 v[0:3], off, off offset:4 ; 16-byte Folded Reload
	s_waitcnt vmcnt(0)
	ds_store_b128 v255, v[0:3] offset:13328
.LBB0_5:
	s_or_b32 exec_lo, exec_lo, s2
	v_add_co_u32 v16, s0, 0x3630, v58
	s_delay_alu instid0(VALU_DEP_1)
	v_add_co_ci_u32_e64 v17, s0, 0, v59, s0
	s_waitcnt lgkmcnt(0)
	s_waitcnt_vscnt null, 0x0
	s_barrier
	buffer_gl0_inv
	s_clause 0x1
	global_load_b128 v[0:3], v[212:213], off offset:1584
	global_load_b128 v[4:7], v[16:17], off offset:816
	ds_load_b128 v[8:11], v255
	ds_load_b128 v[12:15], v255 offset:816
	s_mov_b32 s46, 0x5d8e7cdc
	s_mov_b32 s20, 0x2a9d6da3
	;; [unrolled: 1-line block ×45, first 2 shown]
	s_waitcnt vmcnt(1) lgkmcnt(1)
	v_mul_f64 v[18:19], v[10:11], v[2:3]
	v_mul_f64 v[2:3], v[8:9], v[2:3]
	s_delay_alu instid0(VALU_DEP_2) | instskip(NEXT) | instid1(VALU_DEP_2)
	v_fma_f64 v[184:185], v[8:9], v[0:1], -v[18:19]
	v_fma_f64 v[186:187], v[10:11], v[0:1], v[2:3]
	s_waitcnt vmcnt(0) lgkmcnt(0)
	v_mul_f64 v[0:1], v[14:15], v[6:7]
	v_mul_f64 v[2:3], v[12:13], v[6:7]
	s_delay_alu instid0(VALU_DEP_2) | instskip(NEXT) | instid1(VALU_DEP_2)
	v_fma_f64 v[188:189], v[12:13], v[4:5], -v[0:1]
	v_fma_f64 v[190:191], v[14:15], v[4:5], v[2:3]
	s_clause 0x1
	global_load_b128 v[0:3], v[16:17], off offset:1632
	global_load_b128 v[4:7], v[16:17], off offset:2448
	ds_load_b128 v[8:11], v255 offset:1632
	ds_load_b128 v[12:15], v255 offset:2448
	s_waitcnt vmcnt(1) lgkmcnt(1)
	v_mul_f64 v[18:19], v[10:11], v[2:3]
	v_mul_f64 v[2:3], v[8:9], v[2:3]
	s_delay_alu instid0(VALU_DEP_2) | instskip(NEXT) | instid1(VALU_DEP_2)
	v_fma_f64 v[192:193], v[8:9], v[0:1], -v[18:19]
	v_fma_f64 v[194:195], v[10:11], v[0:1], v[2:3]
	s_waitcnt vmcnt(0) lgkmcnt(0)
	v_mul_f64 v[0:1], v[14:15], v[6:7]
	v_mul_f64 v[2:3], v[12:13], v[6:7]
	s_delay_alu instid0(VALU_DEP_2) | instskip(NEXT) | instid1(VALU_DEP_2)
	v_fma_f64 v[196:197], v[12:13], v[4:5], -v[0:1]
	v_fma_f64 v[198:199], v[14:15], v[4:5], v[2:3]
	s_clause 0x1
	global_load_b128 v[0:3], v[16:17], off offset:3264
	global_load_b128 v[4:7], v[16:17], off offset:4080
	ds_load_b128 v[8:11], v255 offset:3264
	ds_load_b128 v[12:15], v255 offset:4080
	s_waitcnt vmcnt(1) lgkmcnt(1)
	v_mul_f64 v[16:17], v[10:11], v[2:3]
	v_mul_f64 v[2:3], v[8:9], v[2:3]
	s_delay_alu instid0(VALU_DEP_2) | instskip(NEXT) | instid1(VALU_DEP_2)
	v_fma_f64 v[200:201], v[8:9], v[0:1], -v[16:17]
	v_fma_f64 v[202:203], v[10:11], v[0:1], v[2:3]
	s_waitcnt vmcnt(0) lgkmcnt(0)
	v_mul_f64 v[0:1], v[14:15], v[6:7]
	v_mul_f64 v[2:3], v[12:13], v[6:7]
	v_add_co_u32 v16, s0, 0x4000, v58
	s_delay_alu instid0(VALU_DEP_1) | instskip(SKIP_1) | instid1(VALU_DEP_1)
	v_add_co_ci_u32_e64 v17, s0, 0, v59, s0
	v_add_co_u32 v24, s0, 0x5000, v58
	v_add_co_ci_u32_e64 v25, s0, 0, v59, s0
	v_add_co_u32 v40, s0, 0x6000, v58
	s_delay_alu instid0(VALU_DEP_1)
	v_add_co_ci_u32_e64 v41, s0, 0, v59, s0
	s_mov_b32 s0, 0xacd6c6b4
	s_mov_b32 s1, 0xbfc7851a
	;; [unrolled: 1-line block ×3, first 2 shown]
	v_fma_f64 v[204:205], v[12:13], v[4:5], -v[0:1]
	v_fma_f64 v[206:207], v[14:15], v[4:5], v[2:3]
	s_clause 0x1
	global_load_b128 v[0:3], v[16:17], off offset:2384
	global_load_b128 v[4:7], v[16:17], off offset:3200
	ds_load_b128 v[8:11], v255 offset:4896
	ds_load_b128 v[12:15], v255 offset:5712
	s_waitcnt vmcnt(1) lgkmcnt(1)
	v_mul_f64 v[18:19], v[10:11], v[2:3]
	v_mul_f64 v[2:3], v[8:9], v[2:3]
	s_delay_alu instid0(VALU_DEP_2) | instskip(NEXT) | instid1(VALU_DEP_2)
	v_fma_f64 v[208:209], v[8:9], v[0:1], -v[18:19]
	v_fma_f64 v[210:211], v[10:11], v[0:1], v[2:3]
	s_waitcnt vmcnt(0) lgkmcnt(0)
	v_mul_f64 v[0:1], v[14:15], v[6:7]
	v_mul_f64 v[2:3], v[12:13], v[6:7]
	s_delay_alu instid0(VALU_DEP_2) | instskip(NEXT) | instid1(VALU_DEP_2)
	v_fma_f64 v[212:213], v[12:13], v[4:5], -v[0:1]
	v_fma_f64 v[214:215], v[14:15], v[4:5], v[2:3]
	s_clause 0x1
	global_load_b128 v[0:3], v[16:17], off offset:4016
	global_load_b128 v[4:7], v[24:25], off offset:736
	ds_load_b128 v[8:11], v255 offset:6528
	ds_load_b128 v[12:15], v255 offset:7344
	s_waitcnt vmcnt(1) lgkmcnt(1)
	v_mul_f64 v[16:17], v[10:11], v[2:3]
	v_mul_f64 v[2:3], v[8:9], v[2:3]
	s_delay_alu instid0(VALU_DEP_2) | instskip(NEXT) | instid1(VALU_DEP_2)
	v_fma_f64 v[8:9], v[8:9], v[0:1], -v[16:17]
	v_fma_f64 v[10:11], v[10:11], v[0:1], v[2:3]
	s_waitcnt vmcnt(0) lgkmcnt(0)
	v_mul_f64 v[0:1], v[14:15], v[6:7]
	v_mul_f64 v[2:3], v[12:13], v[6:7]
	s_delay_alu instid0(VALU_DEP_2) | instskip(NEXT) | instid1(VALU_DEP_2)
	;; [unrolled: 17-line block ×5, first 2 shown]
	v_fma_f64 v[20:21], v[36:37], v[28:29], -v[20:21]
	v_fma_f64 v[22:23], v[38:39], v[28:29], v[22:23]
	global_load_b128 v[28:31], v[40:41], off offset:2352
	ds_load_b128 v[36:39], v255 offset:13056
	s_waitcnt vmcnt(0) lgkmcnt(0)
	v_mul_f64 v[40:41], v[38:39], v[30:31]
	v_mul_f64 v[30:31], v[36:37], v[30:31]
	s_delay_alu instid0(VALU_DEP_2) | instskip(NEXT) | instid1(VALU_DEP_2)
	v_fma_f64 v[36:37], v[36:37], v[28:29], -v[40:41]
	v_fma_f64 v[38:39], v[38:39], v[28:29], v[30:31]
	ds_store_b128 v255, v[184:187]
	ds_store_b128 v255, v[188:191] offset:816
	ds_store_b128 v255, v[192:195] offset:1632
	;; [unrolled: 1-line block ×16, first 2 shown]
	s_waitcnt lgkmcnt(0)
	s_barrier
	buffer_gl0_inv
	ds_load_b128 v[184:187], v255
	ds_load_b128 v[188:191], v255 offset:816
	ds_load_b128 v[192:195], v255 offset:1632
	;; [unrolled: 1-line block ×11, first 2 shown]
	s_waitcnt lgkmcnt(10)
	v_add_f64 v[0:1], v[184:185], v[188:189]
	v_add_f64 v[2:3], v[186:187], v[190:191]
	s_waitcnt lgkmcnt(1)
	v_add_f64 v[18:19], v[214:215], v[12:13]
	v_add_f64 v[22:23], v[214:215], -v[12:13]
	s_waitcnt lgkmcnt(0)
	v_add_f64 v[28:29], v[210:211], v[26:27]
	v_add_f64 v[30:31], v[210:211], -v[26:27]
	v_add_f64 v[8:9], v[218:219], v[222:223]
	v_add_f64 v[14:15], v[218:219], -v[222:223]
	v_add_f64 v[0:1], v[0:1], v[192:193]
	v_add_f64 v[2:3], v[2:3], v[194:195]
	s_delay_alu instid0(VALU_DEP_2) | instskip(NEXT) | instid1(VALU_DEP_2)
	v_add_f64 v[0:1], v[0:1], v[196:197]
	v_add_f64 v[2:3], v[2:3], v[198:199]
	s_delay_alu instid0(VALU_DEP_2) | instskip(NEXT) | instid1(VALU_DEP_2)
	;; [unrolled: 3-line block ×6, first 2 shown]
	v_add_f64 v[4:5], v[0:1], v[216:217]
	v_add_f64 v[6:7], v[2:3], v[218:219]
	v_add_f64 v[0:1], v[216:217], v[220:221]
	v_add_f64 v[2:3], v[216:217], -v[220:221]
	s_delay_alu instid0(VALU_DEP_4) | instskip(NEXT) | instid1(VALU_DEP_4)
	v_add_f64 v[16:17], v[4:5], v[220:221]
	v_add_f64 v[20:21], v[6:7], v[222:223]
	v_add_f64 v[4:5], v[212:213], v[10:11]
	v_add_f64 v[6:7], v[212:213], -v[10:11]
	s_delay_alu instid0(VALU_DEP_4) | instskip(NEXT) | instid1(VALU_DEP_4)
	;; [unrolled: 5-line block ×3, first 2 shown]
	v_add_f64 v[36:37], v[16:17], v[24:25]
	v_add_f64 v[40:41], v[20:21], v[26:27]
	ds_load_b128 v[24:27], v255 offset:9792
	ds_load_b128 v[32:35], v255 offset:10608
	;; [unrolled: 1-line block ×4, first 2 shown]
	s_waitcnt lgkmcnt(3)
	v_add_f64 v[16:17], v[204:205], v[24:25]
	v_add_f64 v[38:39], v[206:207], v[26:27]
	v_add_f64 v[20:21], v[204:205], -v[24:25]
	v_add_f64 v[42:43], v[206:207], -v[26:27]
	s_waitcnt lgkmcnt(2)
	v_add_f64 v[220:221], v[202:203], v[34:35]
	v_add_f64 v[222:223], v[202:203], -v[34:35]
	s_waitcnt lgkmcnt(1)
	v_add_f64 v[225:226], v[198:199], v[46:47]
	v_add_f64 v[227:228], v[198:199], -v[46:47]
	s_waitcnt lgkmcnt(0)
	v_add_f64 v[229:230], v[194:195], v[50:51]
	v_add_f64 v[231:232], v[194:195], -v[50:51]
	v_add_f64 v[36:37], v[36:37], v[24:25]
	v_add_f64 v[40:41], v[40:41], v[26:27]
	;; [unrolled: 1-line block ×3, first 2 shown]
	v_add_f64 v[26:27], v[200:201], -v[32:33]
	v_mul_f64 v[74:75], v[229:230], s[28:29]
	v_add_f64 v[36:37], v[36:37], v[32:33]
	v_add_f64 v[40:41], v[40:41], v[34:35]
	;; [unrolled: 1-line block ×3, first 2 shown]
	v_add_f64 v[34:35], v[196:197], -v[44:45]
	s_delay_alu instid0(VALU_DEP_4) | instskip(NEXT) | instid1(VALU_DEP_4)
	v_add_f64 v[44:45], v[36:37], v[44:45]
	v_add_f64 v[46:47], v[40:41], v[46:47]
	;; [unrolled: 1-line block ×3, first 2 shown]
	v_add_f64 v[40:41], v[192:193], -v[48:49]
	s_delay_alu instid0(VALU_DEP_4) | instskip(NEXT) | instid1(VALU_DEP_4)
	v_add_f64 v[48:49], v[44:45], v[48:49]
	v_add_f64 v[50:51], v[46:47], v[50:51]
	ds_load_b128 v[44:47], v255 offset:13056
	s_waitcnt lgkmcnt(0)
	s_barrier
	buffer_gl0_inv
	v_add_f64 v[52:53], v[190:191], -v[46:47]
	v_add_f64 v[56:57], v[190:191], v[46:47]
	v_add_f64 v[54:55], v[188:189], v[44:45]
	v_add_f64 v[58:59], v[188:189], -v[44:45]
	v_add_f64 v[188:189], v[48:49], v[44:45]
	v_add_f64 v[190:191], v[50:51], v[46:47]
	v_mul_f64 v[44:45], v[52:53], s[46:47]
	v_mul_f64 v[46:47], v[52:53], s[20:21]
	;; [unrolled: 1-line block ×11, first 2 shown]
	v_fma_f64 v[66:67], v[54:55], s[36:37], v[44:45]
	v_fma_f64 v[44:45], v[54:55], s[36:37], -v[44:45]
	v_fma_f64 v[164:165], v[54:55], s[34:35], v[46:47]
	v_fma_f64 v[166:167], v[54:55], s[34:35], -v[46:47]
	;; [unrolled: 2-line block ×8, first 2 shown]
	v_mul_f64 v[46:47], v[56:57], s[36:37]
	v_mul_f64 v[52:53], v[56:57], s[34:35]
	;; [unrolled: 1-line block ×5, first 2 shown]
	v_fma_f64 v[214:215], v[58:59], s[48:49], v[180:181]
	v_fma_f64 v[68:69], v[58:59], s[52:53], v[192:193]
	;; [unrolled: 1-line block ×6, first 2 shown]
	v_add_f64 v[70:71], v[184:185], v[66:67]
	v_add_f64 v[210:211], v[184:185], v[166:167]
	v_mul_f64 v[166:167], v[227:228], s[8:9]
	v_add_f64 v[202:203], v[184:185], v[168:169]
	v_add_f64 v[206:207], v[184:185], v[170:171]
	;; [unrolled: 1-line block ×6, first 2 shown]
	v_mul_f64 v[242:243], v[28:29], s[26:27]
	v_add_f64 v[50:51], v[184:185], v[248:249]
	v_fma_f64 v[194:195], v[58:59], s[42:43], v[46:47]
	v_fma_f64 v[198:199], v[58:59], s[44:45], v[52:53]
	v_fma_f64 v[196:197], v[58:59], s[46:47], v[46:47]
	v_fma_f64 v[200:201], v[58:59], s[40:41], v[54:55]
	v_fma_f64 v[72:73], v[58:59], s[0:1], v[56:57]
	v_add_f64 v[216:217], v[186:187], v[214:215]
	v_add_f64 v[214:215], v[184:185], v[60:61]
	;; [unrolled: 1-line block ×3, first 2 shown]
	v_mul_f64 v[68:69], v[231:232], s[14:15]
	v_fma_f64 v[54:55], v[58:59], s[16:17], v[54:55]
	v_fma_f64 v[52:53], v[58:59], s[20:21], v[52:53]
	;; [unrolled: 1-line block ×5, first 2 shown]
	v_add_f64 v[46:47], v[184:185], v[44:45]
	v_add_f64 v[212:213], v[186:187], v[239:240]
	;; [unrolled: 1-line block ×6, first 2 shown]
	v_mul_f64 v[233:234], v[38:39], s[22:23]
	v_mul_f64 v[244:245], v[22:23], s[40:41]
	;; [unrolled: 1-line block ×3, first 2 shown]
	v_fma_f64 v[168:169], v[32:33], s[24:25], v[166:167]
	v_add_f64 v[132:133], v[186:187], v[194:195]
	v_add_f64 v[194:195], v[184:185], v[164:165]
	;; [unrolled: 1-line block ×5, first 2 shown]
	v_fma_f64 v[164:165], v[40:41], s[38:39], v[74:75]
	v_add_f64 v[44:45], v[186:187], v[196:197]
	v_add_f64 v[200:201], v[186:187], v[200:201]
	v_fma_f64 v[72:73], v[36:37], s[28:29], v[68:69]
	v_add_f64 v[196:197], v[186:187], v[54:55]
	v_add_f64 v[54:55], v[184:185], v[246:247]
	;; [unrolled: 1-line block ×7, first 2 shown]
	v_mul_f64 v[235:236], v[30:31], s[48:49]
	v_mul_f64 v[246:247], v[18:19], s[30:31]
	v_fma_f64 v[68:69], v[36:37], s[28:29], -v[68:69]
	v_fma_f64 v[74:75], v[40:41], s[14:15], v[74:75]
	v_add_f64 v[164:165], v[164:165], v[192:193]
	v_add_f64 v[72:73], v[72:73], v[194:195]
	s_delay_alu instid0(VALU_DEP_4) | instskip(NEXT) | instid1(VALU_DEP_4)
	v_add_f64 v[68:69], v[68:69], v[210:211]
	v_add_f64 v[74:75], v[74:75], v[208:209]
	v_mul_f64 v[208:209], v[220:221], s[26:27]
	v_mul_f64 v[210:211], v[42:43], s[44:45]
	v_add_f64 v[72:73], v[168:169], v[72:73]
	v_mul_f64 v[168:169], v[225:226], s[24:25]
	s_delay_alu instid0(VALU_DEP_1) | instskip(NEXT) | instid1(VALU_DEP_1)
	v_fma_f64 v[170:171], v[34:35], s[50:51], v[168:169]
	v_add_f64 v[164:165], v[170:171], v[164:165]
	v_mul_f64 v[170:171], v[222:223], s[0:1]
	s_delay_alu instid0(VALU_DEP_1) | instskip(NEXT) | instid1(VALU_DEP_1)
	v_fma_f64 v[184:185], v[24:25], s[18:19], v[170:171]
	;; [unrolled: 4-line block ×4, first 2 shown]
	v_add_f64 v[72:73], v[192:193], v[72:73]
	v_fma_f64 v[192:193], v[20:21], s[2:3], v[233:234]
	s_delay_alu instid0(VALU_DEP_1) | instskip(SKIP_1) | instid1(VALU_DEP_1)
	v_add_f64 v[164:165], v[192:193], v[164:165]
	v_fma_f64 v[192:193], v[10:11], s[26:27], v[235:236]
	v_add_f64 v[72:73], v[192:193], v[72:73]
	v_fma_f64 v[192:193], v[12:13], s[10:11], v[242:243]
	s_delay_alu instid0(VALU_DEP_1) | instskip(SKIP_1) | instid1(VALU_DEP_1)
	v_add_f64 v[164:165], v[192:193], v[164:165]
	v_fma_f64 v[192:193], v[4:5], s[30:31], v[244:245]
	;; [unrolled: 5-line block ×3, first 2 shown]
	v_add_f64 v[192:193], v[192:193], v[72:73]
	v_mul_f64 v[72:73], v[8:9], s[36:37]
	s_delay_alu instid0(VALU_DEP_1) | instskip(SKIP_1) | instid1(VALU_DEP_2)
	v_fma_f64 v[194:195], v[2:3], s[46:47], v[72:73]
	v_fma_f64 v[72:73], v[2:3], s[42:43], v[72:73]
	v_add_f64 v[194:195], v[194:195], v[164:165]
	v_fma_f64 v[164:165], v[32:33], s[24:25], -v[166:167]
	v_mul_f64 v[166:167], v[227:228], s[54:55]
	s_delay_alu instid0(VALU_DEP_2) | instskip(SKIP_1) | instid1(VALU_DEP_3)
	v_add_f64 v[68:69], v[164:165], v[68:69]
	v_fma_f64 v[164:165], v[34:35], s[8:9], v[168:169]
	v_fma_f64 v[168:169], v[32:33], s[18:19], v[166:167]
	s_delay_alu instid0(VALU_DEP_2) | instskip(SKIP_1) | instid1(VALU_DEP_1)
	v_add_f64 v[74:75], v[164:165], v[74:75]
	v_fma_f64 v[164:165], v[24:25], s[18:19], -v[170:171]
	v_add_f64 v[68:69], v[164:165], v[68:69]
	v_fma_f64 v[164:165], v[26:27], s[0:1], v[184:185]
	s_delay_alu instid0(VALU_DEP_1) | instskip(SKIP_1) | instid1(VALU_DEP_1)
	v_add_f64 v[74:75], v[164:165], v[74:75]
	v_fma_f64 v[164:165], v[16:17], s[22:23], -v[186:187]
	v_add_f64 v[68:69], v[164:165], v[68:69]
	v_fma_f64 v[164:165], v[20:21], s[52:53], v[233:234]
	v_mul_f64 v[233:234], v[38:39], s[34:35]
	s_delay_alu instid0(VALU_DEP_2) | instskip(SKIP_2) | instid1(VALU_DEP_2)
	v_add_f64 v[74:75], v[164:165], v[74:75]
	v_fma_f64 v[164:165], v[10:11], s[26:27], -v[235:236]
	v_mul_f64 v[235:236], v[30:31], s[46:47]
	v_add_f64 v[68:69], v[164:165], v[68:69]
	v_fma_f64 v[164:165], v[12:13], s[48:49], v[242:243]
	v_mul_f64 v[242:243], v[28:29], s[36:37]
	s_delay_alu instid0(VALU_DEP_2) | instskip(SKIP_2) | instid1(VALU_DEP_2)
	v_add_f64 v[74:75], v[164:165], v[74:75]
	v_fma_f64 v[164:165], v[4:5], s[30:31], -v[244:245]
	v_mul_f64 v[244:245], v[22:23], s[14:15]
	v_add_f64 v[68:69], v[164:165], v[68:69]
	v_fma_f64 v[164:165], v[6:7], s[40:41], v[246:247]
	v_mul_f64 v[246:247], v[18:19], s[28:29]
	s_delay_alu instid0(VALU_DEP_2) | instskip(SKIP_2) | instid1(VALU_DEP_3)
	v_add_f64 v[74:75], v[164:165], v[74:75]
	v_fma_f64 v[164:165], v[0:1], s[36:37], -v[248:249]
	v_mul_f64 v[248:249], v[14:15], s[2:3]
	v_add_f64 v[186:187], v[72:73], v[74:75]
	s_delay_alu instid0(VALU_DEP_3) | instskip(SKIP_2) | instid1(VALU_DEP_2)
	v_add_f64 v[184:185], v[164:165], v[68:69]
	v_mul_f64 v[68:69], v[231:232], s[8:9]
	v_mul_f64 v[74:75], v[229:230], s[24:25]
	v_fma_f64 v[72:73], v[36:37], s[24:25], v[68:69]
	s_delay_alu instid0(VALU_DEP_2) | instskip(SKIP_2) | instid1(VALU_DEP_4)
	v_fma_f64 v[164:165], v[40:41], s[50:51], v[74:75]
	v_fma_f64 v[68:69], v[36:37], s[24:25], -v[68:69]
	v_fma_f64 v[74:75], v[40:41], s[8:9], v[74:75]
	v_add_f64 v[72:73], v[72:73], v[202:203]
	s_delay_alu instid0(VALU_DEP_4) | instskip(NEXT) | instid1(VALU_DEP_4)
	v_add_f64 v[164:165], v[164:165], v[200:201]
	v_add_f64 v[68:69], v[68:69], v[198:199]
	s_delay_alu instid0(VALU_DEP_4) | instskip(NEXT) | instid1(VALU_DEP_4)
	v_add_f64 v[74:75], v[74:75], v[196:197]
	v_add_f64 v[72:73], v[168:169], v[72:73]
	v_mul_f64 v[168:169], v[225:226], s[18:19]
	s_delay_alu instid0(VALU_DEP_1) | instskip(NEXT) | instid1(VALU_DEP_1)
	v_fma_f64 v[170:171], v[34:35], s[0:1], v[168:169]
	v_add_f64 v[164:165], v[170:171], v[164:165]
	v_mul_f64 v[170:171], v[222:223], s[48:49]
	s_delay_alu instid0(VALU_DEP_1) | instskip(NEXT) | instid1(VALU_DEP_1)
	v_fma_f64 v[200:201], v[24:25], s[26:27], v[170:171]
	v_add_f64 v[72:73], v[200:201], v[72:73]
	v_fma_f64 v[200:201], v[26:27], s[10:11], v[208:209]
	s_delay_alu instid0(VALU_DEP_1) | instskip(SKIP_1) | instid1(VALU_DEP_1)
	v_add_f64 v[164:165], v[200:201], v[164:165]
	v_fma_f64 v[200:201], v[16:17], s[34:35], v[210:211]
	v_add_f64 v[72:73], v[200:201], v[72:73]
	v_fma_f64 v[200:201], v[20:21], s[20:21], v[233:234]
	s_delay_alu instid0(VALU_DEP_1) | instskip(SKIP_1) | instid1(VALU_DEP_1)
	v_add_f64 v[164:165], v[200:201], v[164:165]
	;; [unrolled: 5-line block ×4, first 2 shown]
	v_fma_f64 v[200:201], v[0:1], s[22:23], v[248:249]
	v_add_f64 v[200:201], v[200:201], v[72:73]
	v_mul_f64 v[72:73], v[8:9], s[22:23]
	s_delay_alu instid0(VALU_DEP_1) | instskip(SKIP_1) | instid1(VALU_DEP_2)
	v_fma_f64 v[202:203], v[2:3], s[52:53], v[72:73]
	v_fma_f64 v[72:73], v[2:3], s[2:3], v[72:73]
	v_add_f64 v[202:203], v[202:203], v[164:165]
	v_fma_f64 v[164:165], v[32:33], s[18:19], -v[166:167]
	v_mul_f64 v[166:167], v[227:228], s[48:49]
	s_delay_alu instid0(VALU_DEP_2) | instskip(SKIP_1) | instid1(VALU_DEP_3)
	v_add_f64 v[68:69], v[164:165], v[68:69]
	v_fma_f64 v[164:165], v[34:35], s[54:55], v[168:169]
	v_fma_f64 v[168:169], v[32:33], s[26:27], v[166:167]
	s_delay_alu instid0(VALU_DEP_2) | instskip(SKIP_1) | instid1(VALU_DEP_1)
	v_add_f64 v[74:75], v[164:165], v[74:75]
	v_fma_f64 v[164:165], v[24:25], s[26:27], -v[170:171]
	v_add_f64 v[68:69], v[164:165], v[68:69]
	v_fma_f64 v[164:165], v[26:27], s[48:49], v[208:209]
	s_delay_alu instid0(VALU_DEP_1) | instskip(SKIP_1) | instid1(VALU_DEP_1)
	v_add_f64 v[74:75], v[164:165], v[74:75]
	v_fma_f64 v[164:165], v[16:17], s[34:35], -v[210:211]
	v_add_f64 v[68:69], v[164:165], v[68:69]
	v_fma_f64 v[164:165], v[20:21], s[44:45], v[233:234]
	v_mul_f64 v[233:234], v[38:39], s[30:31]
	s_delay_alu instid0(VALU_DEP_2) | instskip(SKIP_2) | instid1(VALU_DEP_2)
	v_add_f64 v[74:75], v[164:165], v[74:75]
	v_fma_f64 v[164:165], v[10:11], s[36:37], -v[235:236]
	v_mul_f64 v[235:236], v[30:31], s[2:3]
	v_add_f64 v[68:69], v[164:165], v[68:69]
	v_fma_f64 v[164:165], v[12:13], s[46:47], v[242:243]
	v_mul_f64 v[242:243], v[28:29], s[22:23]
	s_delay_alu instid0(VALU_DEP_2) | instskip(SKIP_2) | instid1(VALU_DEP_2)
	v_add_f64 v[74:75], v[164:165], v[74:75]
	v_fma_f64 v[164:165], v[4:5], s[28:29], -v[244:245]
	v_mul_f64 v[244:245], v[22:23], s[50:51]
	v_add_f64 v[68:69], v[164:165], v[68:69]
	v_fma_f64 v[164:165], v[6:7], s[14:15], v[246:247]
	v_mul_f64 v[246:247], v[18:19], s[24:25]
	s_delay_alu instid0(VALU_DEP_2) | instskip(SKIP_2) | instid1(VALU_DEP_3)
	v_add_f64 v[74:75], v[164:165], v[74:75]
	v_fma_f64 v[164:165], v[0:1], s[22:23], -v[248:249]
	v_mul_f64 v[248:249], v[14:15], s[44:45]
	v_add_f64 v[198:199], v[72:73], v[74:75]
	s_delay_alu instid0(VALU_DEP_3) | instskip(SKIP_2) | instid1(VALU_DEP_2)
	v_add_f64 v[196:197], v[164:165], v[68:69]
	v_mul_f64 v[68:69], v[231:232], s[0:1]
	v_mul_f64 v[74:75], v[229:230], s[18:19]
	v_fma_f64 v[72:73], v[36:37], s[18:19], v[68:69]
	s_delay_alu instid0(VALU_DEP_2) | instskip(SKIP_2) | instid1(VALU_DEP_4)
	v_fma_f64 v[164:165], v[40:41], s[54:55], v[74:75]
	v_fma_f64 v[68:69], v[36:37], s[18:19], -v[68:69]
	v_fma_f64 v[74:75], v[40:41], s[0:1], v[74:75]
	v_add_f64 v[72:73], v[72:73], v[206:207]
	s_delay_alu instid0(VALU_DEP_4) | instskip(NEXT) | instid1(VALU_DEP_4)
	v_add_f64 v[164:165], v[164:165], v[204:205]
	v_add_f64 v[68:69], v[68:69], v[182:183]
	s_delay_alu instid0(VALU_DEP_4) | instskip(NEXT) | instid1(VALU_DEP_4)
	v_add_f64 v[74:75], v[74:75], v[180:181]
	v_add_f64 v[72:73], v[168:169], v[72:73]
	v_mul_f64 v[168:169], v[225:226], s[26:27]
	s_delay_alu instid0(VALU_DEP_1) | instskip(NEXT) | instid1(VALU_DEP_1)
	v_fma_f64 v[170:171], v[34:35], s[10:11], v[168:169]
	v_add_f64 v[164:165], v[170:171], v[164:165]
	v_mul_f64 v[170:171], v[222:223], s[42:43]
	s_delay_alu instid0(VALU_DEP_1) | instskip(NEXT) | instid1(VALU_DEP_1)
	v_fma_f64 v[204:205], v[24:25], s[36:37], v[170:171]
	;; [unrolled: 4-line block ×4, first 2 shown]
	v_add_f64 v[72:73], v[208:209], v[72:73]
	v_fma_f64 v[208:209], v[20:21], s[40:41], v[233:234]
	s_delay_alu instid0(VALU_DEP_1) | instskip(SKIP_1) | instid1(VALU_DEP_1)
	v_add_f64 v[164:165], v[208:209], v[164:165]
	v_fma_f64 v[208:209], v[10:11], s[22:23], v[235:236]
	v_add_f64 v[72:73], v[208:209], v[72:73]
	v_fma_f64 v[208:209], v[12:13], s[52:53], v[242:243]
	s_delay_alu instid0(VALU_DEP_1) | instskip(SKIP_1) | instid1(VALU_DEP_1)
	v_add_f64 v[164:165], v[208:209], v[164:165]
	v_fma_f64 v[208:209], v[4:5], s[24:25], v[244:245]
	;; [unrolled: 5-line block ×3, first 2 shown]
	v_add_f64 v[208:209], v[208:209], v[72:73]
	v_mul_f64 v[72:73], v[8:9], s[34:35]
	s_delay_alu instid0(VALU_DEP_1) | instskip(SKIP_1) | instid1(VALU_DEP_2)
	v_fma_f64 v[210:211], v[2:3], s[20:21], v[72:73]
	v_fma_f64 v[72:73], v[2:3], s[44:45], v[72:73]
	v_add_f64 v[210:211], v[210:211], v[164:165]
	v_fma_f64 v[164:165], v[32:33], s[26:27], -v[166:167]
	v_mul_f64 v[166:167], v[227:228], s[44:45]
	s_delay_alu instid0(VALU_DEP_2) | instskip(SKIP_1) | instid1(VALU_DEP_3)
	v_add_f64 v[68:69], v[164:165], v[68:69]
	v_fma_f64 v[164:165], v[34:35], s[48:49], v[168:169]
	v_fma_f64 v[168:169], v[32:33], s[34:35], v[166:167]
	s_delay_alu instid0(VALU_DEP_2) | instskip(SKIP_1) | instid1(VALU_DEP_1)
	v_add_f64 v[74:75], v[164:165], v[74:75]
	v_fma_f64 v[164:165], v[24:25], s[36:37], -v[170:171]
	v_add_f64 v[68:69], v[164:165], v[68:69]
	v_fma_f64 v[164:165], v[26:27], s[42:43], v[204:205]
	s_delay_alu instid0(VALU_DEP_1) | instskip(SKIP_1) | instid1(VALU_DEP_1)
	v_add_f64 v[74:75], v[164:165], v[74:75]
	v_fma_f64 v[164:165], v[16:17], s[30:31], -v[206:207]
	v_add_f64 v[68:69], v[164:165], v[68:69]
	v_fma_f64 v[164:165], v[20:21], s[16:17], v[233:234]
	v_mul_f64 v[233:234], v[38:39], s[18:19]
	s_delay_alu instid0(VALU_DEP_2) | instskip(SKIP_2) | instid1(VALU_DEP_2)
	v_add_f64 v[74:75], v[164:165], v[74:75]
	v_fma_f64 v[164:165], v[10:11], s[22:23], -v[235:236]
	v_mul_f64 v[235:236], v[30:31], s[38:39]
	v_add_f64 v[68:69], v[164:165], v[68:69]
	v_fma_f64 v[164:165], v[12:13], s[2:3], v[242:243]
	v_mul_f64 v[242:243], v[28:29], s[28:29]
	s_delay_alu instid0(VALU_DEP_2) | instskip(SKIP_2) | instid1(VALU_DEP_2)
	v_add_f64 v[74:75], v[164:165], v[74:75]
	v_fma_f64 v[164:165], v[4:5], s[24:25], -v[244:245]
	v_mul_f64 v[244:245], v[22:23], s[46:47]
	v_add_f64 v[68:69], v[164:165], v[68:69]
	v_fma_f64 v[164:165], v[6:7], s[50:51], v[246:247]
	v_mul_f64 v[246:247], v[18:19], s[36:37]
	s_delay_alu instid0(VALU_DEP_2) | instskip(SKIP_2) | instid1(VALU_DEP_3)
	v_add_f64 v[74:75], v[164:165], v[74:75]
	v_fma_f64 v[164:165], v[0:1], s[34:35], -v[248:249]
	v_mul_f64 v[248:249], v[14:15], s[8:9]
	v_add_f64 v[206:207], v[72:73], v[74:75]
	s_delay_alu instid0(VALU_DEP_3) | instskip(SKIP_2) | instid1(VALU_DEP_2)
	v_add_f64 v[204:205], v[164:165], v[68:69]
	v_mul_f64 v[68:69], v[231:232], s[52:53]
	v_mul_f64 v[74:75], v[229:230], s[22:23]
	v_fma_f64 v[72:73], v[36:37], s[22:23], v[68:69]
	s_delay_alu instid0(VALU_DEP_2) | instskip(SKIP_2) | instid1(VALU_DEP_4)
	v_fma_f64 v[164:165], v[40:41], s[2:3], v[74:75]
	v_fma_f64 v[68:69], v[36:37], s[22:23], -v[68:69]
	v_fma_f64 v[74:75], v[40:41], s[52:53], v[74:75]
	v_add_f64 v[72:73], v[72:73], v[218:219]
	s_delay_alu instid0(VALU_DEP_4) | instskip(NEXT) | instid1(VALU_DEP_4)
	v_add_f64 v[164:165], v[164:165], v[216:217]
	v_add_f64 v[68:69], v[68:69], v[214:215]
	s_delay_alu instid0(VALU_DEP_4) | instskip(NEXT) | instid1(VALU_DEP_4)
	v_add_f64 v[74:75], v[74:75], v[212:213]
	v_add_f64 v[72:73], v[168:169], v[72:73]
	v_mul_f64 v[168:169], v[225:226], s[34:35]
	s_delay_alu instid0(VALU_DEP_1) | instskip(NEXT) | instid1(VALU_DEP_1)
	v_fma_f64 v[170:171], v[34:35], s[20:21], v[168:169]
	v_add_f64 v[164:165], v[170:171], v[164:165]
	v_mul_f64 v[170:171], v[222:223], s[16:17]
	s_delay_alu instid0(VALU_DEP_1) | instskip(NEXT) | instid1(VALU_DEP_1)
	v_fma_f64 v[180:181], v[24:25], s[30:31], v[170:171]
	v_add_f64 v[72:73], v[180:181], v[72:73]
	v_mul_f64 v[180:181], v[220:221], s[30:31]
	s_delay_alu instid0(VALU_DEP_1) | instskip(NEXT) | instid1(VALU_DEP_1)
	v_fma_f64 v[182:183], v[26:27], s[40:41], v[180:181]
	v_add_f64 v[164:165], v[182:183], v[164:165]
	v_mul_f64 v[182:183], v[42:43], s[0:1]
	s_delay_alu instid0(VALU_DEP_1) | instskip(NEXT) | instid1(VALU_DEP_1)
	v_fma_f64 v[216:217], v[16:17], s[18:19], v[182:183]
	v_add_f64 v[72:73], v[216:217], v[72:73]
	v_fma_f64 v[216:217], v[20:21], s[54:55], v[233:234]
	s_delay_alu instid0(VALU_DEP_1) | instskip(SKIP_1) | instid1(VALU_DEP_1)
	v_add_f64 v[164:165], v[216:217], v[164:165]
	v_fma_f64 v[216:217], v[10:11], s[28:29], v[235:236]
	v_add_f64 v[72:73], v[216:217], v[72:73]
	v_fma_f64 v[216:217], v[12:13], s[14:15], v[242:243]
	s_delay_alu instid0(VALU_DEP_1) | instskip(SKIP_1) | instid1(VALU_DEP_1)
	v_add_f64 v[164:165], v[216:217], v[164:165]
	v_fma_f64 v[216:217], v[4:5], s[36:37], v[244:245]
	;; [unrolled: 5-line block ×3, first 2 shown]
	v_add_f64 v[216:217], v[216:217], v[72:73]
	v_mul_f64 v[72:73], v[8:9], s[24:25]
	s_delay_alu instid0(VALU_DEP_1) | instskip(SKIP_1) | instid1(VALU_DEP_2)
	v_fma_f64 v[218:219], v[2:3], s[50:51], v[72:73]
	v_fma_f64 v[72:73], v[2:3], s[8:9], v[72:73]
	v_add_f64 v[218:219], v[218:219], v[164:165]
	v_fma_f64 v[164:165], v[32:33], s[34:35], -v[166:167]
	v_mul_f64 v[166:167], v[227:228], s[46:47]
	s_delay_alu instid0(VALU_DEP_2) | instskip(SKIP_1) | instid1(VALU_DEP_3)
	v_add_f64 v[68:69], v[164:165], v[68:69]
	v_fma_f64 v[164:165], v[34:35], s[44:45], v[168:169]
	v_fma_f64 v[168:169], v[32:33], s[36:37], v[166:167]
	s_delay_alu instid0(VALU_DEP_2) | instskip(SKIP_1) | instid1(VALU_DEP_1)
	v_add_f64 v[74:75], v[164:165], v[74:75]
	v_fma_f64 v[164:165], v[24:25], s[30:31], -v[170:171]
	v_add_f64 v[68:69], v[164:165], v[68:69]
	v_fma_f64 v[164:165], v[26:27], s[16:17], v[180:181]
	s_delay_alu instid0(VALU_DEP_1) | instskip(SKIP_1) | instid1(VALU_DEP_1)
	v_add_f64 v[74:75], v[164:165], v[74:75]
	v_fma_f64 v[164:165], v[16:17], s[18:19], -v[182:183]
	v_add_f64 v[68:69], v[164:165], v[68:69]
	v_fma_f64 v[164:165], v[20:21], s[0:1], v[233:234]
	v_mul_f64 v[233:234], v[220:221], s[22:23]
	s_delay_alu instid0(VALU_DEP_2) | instskip(SKIP_2) | instid1(VALU_DEP_2)
	v_add_f64 v[74:75], v[164:165], v[74:75]
	v_fma_f64 v[164:165], v[10:11], s[28:29], -v[235:236]
	v_mul_f64 v[235:236], v[42:43], s[38:39]
	v_add_f64 v[68:69], v[164:165], v[68:69]
	v_fma_f64 v[164:165], v[12:13], s[38:39], v[242:243]
	v_mul_f64 v[242:243], v[28:29], s[34:35]
	s_delay_alu instid0(VALU_DEP_2) | instskip(SKIP_2) | instid1(VALU_DEP_2)
	v_add_f64 v[74:75], v[164:165], v[74:75]
	v_fma_f64 v[164:165], v[4:5], s[36:37], -v[244:245]
	v_mul_f64 v[244:245], v[22:23], s[0:1]
	v_add_f64 v[68:69], v[164:165], v[68:69]
	v_fma_f64 v[164:165], v[6:7], s[46:47], v[246:247]
	v_mul_f64 v[246:247], v[18:19], s[18:19]
	s_delay_alu instid0(VALU_DEP_2) | instskip(SKIP_2) | instid1(VALU_DEP_3)
	v_add_f64 v[74:75], v[164:165], v[74:75]
	v_fma_f64 v[164:165], v[0:1], s[24:25], -v[248:249]
	v_mul_f64 v[248:249], v[14:15], s[40:41]
	v_add_f64 v[214:215], v[72:73], v[74:75]
	s_delay_alu instid0(VALU_DEP_3) | instskip(SKIP_2) | instid1(VALU_DEP_2)
	v_add_f64 v[212:213], v[164:165], v[68:69]
	v_mul_f64 v[68:69], v[231:232], s[48:49]
	v_mul_f64 v[74:75], v[229:230], s[26:27]
	v_fma_f64 v[72:73], v[36:37], s[26:27], v[68:69]
	s_delay_alu instid0(VALU_DEP_2) | instskip(SKIP_1) | instid1(VALU_DEP_3)
	v_fma_f64 v[164:165], v[40:41], s[10:11], v[74:75]
	v_fma_f64 v[68:69], v[36:37], s[26:27], -v[68:69]
	v_add_f64 v[72:73], v[72:73], v[239:240]
	s_delay_alu instid0(VALU_DEP_3) | instskip(NEXT) | instid1(VALU_DEP_3)
	v_add_f64 v[164:165], v[164:165], v[237:238]
	v_add_f64 v[66:67], v[68:69], v[66:67]
	v_fma_f64 v[68:69], v[40:41], s[48:49], v[74:75]
	v_mul_f64 v[237:238], v[38:39], s[28:29]
	v_mul_f64 v[239:240], v[30:31], s[20:21]
	v_add_f64 v[72:73], v[168:169], v[72:73]
	v_mul_f64 v[168:169], v[225:226], s[36:37]
	v_add_f64 v[64:65], v[68:69], v[64:65]
	v_fma_f64 v[68:69], v[32:33], s[36:37], -v[166:167]
	s_delay_alu instid0(VALU_DEP_3) | instskip(NEXT) | instid1(VALU_DEP_2)
	v_fma_f64 v[170:171], v[34:35], s[42:43], v[168:169]
	v_add_f64 v[66:67], v[68:69], v[66:67]
	v_fma_f64 v[68:69], v[34:35], s[46:47], v[168:169]
	s_delay_alu instid0(VALU_DEP_3) | instskip(SKIP_1) | instid1(VALU_DEP_3)
	v_add_f64 v[164:165], v[170:171], v[164:165]
	v_mul_f64 v[170:171], v[222:223], s[2:3]
	v_add_f64 v[64:65], v[68:69], v[64:65]
	s_delay_alu instid0(VALU_DEP_2) | instskip(SKIP_1) | instid1(VALU_DEP_2)
	v_fma_f64 v[180:181], v[24:25], s[22:23], v[170:171]
	v_fma_f64 v[68:69], v[24:25], s[22:23], -v[170:171]
	v_add_f64 v[72:73], v[180:181], v[72:73]
	v_fma_f64 v[180:181], v[26:27], s[52:53], v[233:234]
	s_delay_alu instid0(VALU_DEP_3) | instskip(SKIP_1) | instid1(VALU_DEP_3)
	v_add_f64 v[66:67], v[68:69], v[66:67]
	v_fma_f64 v[68:69], v[26:27], s[2:3], v[233:234]
	v_add_f64 v[164:165], v[180:181], v[164:165]
	v_fma_f64 v[180:181], v[16:17], s[28:29], v[235:236]
	s_delay_alu instid0(VALU_DEP_3) | instskip(SKIP_1) | instid1(VALU_DEP_3)
	v_add_f64 v[64:65], v[68:69], v[64:65]
	v_fma_f64 v[68:69], v[16:17], s[28:29], -v[235:236]
	v_add_f64 v[72:73], v[180:181], v[72:73]
	v_fma_f64 v[180:181], v[20:21], s[14:15], v[237:238]
	s_delay_alu instid0(VALU_DEP_3) | instskip(SKIP_1) | instid1(VALU_DEP_3)
	v_add_f64 v[66:67], v[68:69], v[66:67]
	v_fma_f64 v[68:69], v[20:21], s[38:39], v[237:238]
	v_add_f64 v[164:165], v[180:181], v[164:165]
	v_fma_f64 v[180:181], v[10:11], s[34:35], v[239:240]
	s_delay_alu instid0(VALU_DEP_3) | instskip(SKIP_1) | instid1(VALU_DEP_3)
	v_add_f64 v[64:65], v[68:69], v[64:65]
	;; [unrolled: 10-line block ×3, first 2 shown]
	v_fma_f64 v[68:69], v[4:5], s[18:19], -v[244:245]
	v_add_f64 v[72:73], v[180:181], v[72:73]
	v_fma_f64 v[180:181], v[6:7], s[54:55], v[246:247]
	s_delay_alu instid0(VALU_DEP_3) | instskip(SKIP_2) | instid1(VALU_DEP_4)
	v_add_f64 v[66:67], v[68:69], v[66:67]
	v_fma_f64 v[68:69], v[6:7], s[0:1], v[246:247]
	v_mul_f64 v[246:247], v[14:15], s[10:11]
	v_add_f64 v[164:165], v[180:181], v[164:165]
	v_fma_f64 v[180:181], v[0:1], s[30:31], v[248:249]
	s_delay_alu instid0(VALU_DEP_4) | instskip(SKIP_2) | instid1(VALU_DEP_4)
	v_add_f64 v[68:69], v[68:69], v[64:65]
	v_fma_f64 v[64:65], v[0:1], s[30:31], -v[248:249]
	v_mul_f64 v[248:249], v[8:9], s[26:27]
	v_add_f64 v[180:181], v[180:181], v[72:73]
	v_mul_f64 v[72:73], v[8:9], s[30:31]
	s_delay_alu instid0(VALU_DEP_4) | instskip(NEXT) | instid1(VALU_DEP_2)
	v_add_f64 v[64:65], v[64:65], v[66:67]
	v_fma_f64 v[182:183], v[2:3], s[16:17], v[72:73]
	v_fma_f64 v[72:73], v[2:3], s[40:41], v[72:73]
	s_delay_alu instid0(VALU_DEP_2) | instskip(NEXT) | instid1(VALU_DEP_2)
	v_add_f64 v[182:183], v[182:183], v[164:165]
	v_add_f64 v[66:67], v[72:73], v[68:69]
	v_mul_f64 v[68:69], v[231:232], s[40:41]
	s_delay_alu instid0(VALU_DEP_1) | instskip(SKIP_1) | instid1(VALU_DEP_2)
	v_fma_f64 v[72:73], v[36:37], s[30:31], v[68:69]
	v_fma_f64 v[68:69], v[36:37], s[30:31], -v[68:69]
	v_add_f64 v[62:63], v[72:73], v[62:63]
	v_mul_f64 v[72:73], v[229:230], s[30:31]
	s_delay_alu instid0(VALU_DEP_3) | instskip(NEXT) | instid1(VALU_DEP_2)
	v_add_f64 v[58:59], v[68:69], v[58:59]
	v_fma_f64 v[74:75], v[40:41], s[16:17], v[72:73]
	v_fma_f64 v[68:69], v[40:41], s[40:41], v[72:73]
	;; [unrolled: 1-line block ×3, first 2 shown]
	s_delay_alu instid0(VALU_DEP_3) | instskip(SKIP_1) | instid1(VALU_DEP_4)
	v_add_f64 v[60:61], v[74:75], v[60:61]
	v_mul_f64 v[74:75], v[227:228], s[14:15]
	v_add_f64 v[56:57], v[68:69], v[56:57]
	s_delay_alu instid0(VALU_DEP_2) | instskip(SKIP_1) | instid1(VALU_DEP_2)
	v_fma_f64 v[164:165], v[32:33], s[28:29], v[74:75]
	v_fma_f64 v[68:69], v[32:33], s[28:29], -v[74:75]
	v_add_f64 v[62:63], v[164:165], v[62:63]
	v_mul_f64 v[164:165], v[225:226], s[28:29]
	s_delay_alu instid0(VALU_DEP_3) | instskip(NEXT) | instid1(VALU_DEP_2)
	v_add_f64 v[58:59], v[68:69], v[58:59]
	v_fma_f64 v[166:167], v[34:35], s[38:39], v[164:165]
	v_fma_f64 v[68:69], v[34:35], s[14:15], v[164:165]
	s_delay_alu instid0(VALU_DEP_2) | instskip(SKIP_1) | instid1(VALU_DEP_3)
	v_add_f64 v[60:61], v[166:167], v[60:61]
	v_mul_f64 v[166:167], v[222:223], s[50:51]
	v_add_f64 v[56:57], v[68:69], v[56:57]
	s_delay_alu instid0(VALU_DEP_2) | instskip(SKIP_1) | instid1(VALU_DEP_2)
	v_fma_f64 v[168:169], v[24:25], s[24:25], v[166:167]
	v_fma_f64 v[68:69], v[24:25], s[24:25], -v[166:167]
	v_add_f64 v[62:63], v[168:169], v[62:63]
	v_mul_f64 v[168:169], v[220:221], s[24:25]
	s_delay_alu instid0(VALU_DEP_3) | instskip(NEXT) | instid1(VALU_DEP_2)
	v_add_f64 v[58:59], v[68:69], v[58:59]
	v_fma_f64 v[170:171], v[26:27], s[8:9], v[168:169]
	v_fma_f64 v[68:69], v[26:27], s[50:51], v[168:169]
	s_delay_alu instid0(VALU_DEP_2) | instskip(SKIP_1) | instid1(VALU_DEP_3)
	;; [unrolled: 13-line block ×5, first 2 shown]
	v_add_f64 v[68:69], v[68:69], v[56:57]
	v_fma_f64 v[56:57], v[0:1], s[26:27], -v[246:247]
	v_add_f64 v[244:245], v[244:245], v[60:61]
	v_fma_f64 v[60:61], v[0:1], s[26:27], v[246:247]
	v_mul_f64 v[246:247], v[14:15], s[38:39]
	v_mul_f64 v[14:15], v[14:15], s[0:1]
	v_add_f64 v[56:57], v[56:57], v[58:59]
	v_add_f64 v[58:59], v[72:73], v[68:69]
	v_mul_f64 v[68:69], v[231:232], s[42:43]
	v_add_f64 v[60:61], v[60:61], v[62:63]
	v_fma_f64 v[62:63], v[2:3], s[48:49], v[248:249]
	v_mul_f64 v[248:249], v[8:9], s[28:29]
	v_mul_f64 v[8:9], v[8:9], s[18:19]
	v_fma_f64 v[72:73], v[36:37], s[36:37], v[68:69]
	v_fma_f64 v[68:69], v[36:37], s[36:37], -v[68:69]
	v_add_f64 v[62:63], v[62:63], v[244:245]
	s_delay_alu instid0(VALU_DEP_3) | instskip(SKIP_1) | instid1(VALU_DEP_4)
	v_add_f64 v[54:55], v[72:73], v[54:55]
	v_mul_f64 v[72:73], v[229:230], s[36:37]
	v_add_f64 v[50:51], v[68:69], v[50:51]
	s_delay_alu instid0(VALU_DEP_2) | instskip(SKIP_2) | instid1(VALU_DEP_3)
	v_fma_f64 v[74:75], v[40:41], s[46:47], v[72:73]
	v_fma_f64 v[68:69], v[40:41], s[42:43], v[72:73]
	;; [unrolled: 1-line block ×3, first 2 shown]
	v_add_f64 v[52:53], v[74:75], v[52:53]
	v_mul_f64 v[74:75], v[227:228], s[2:3]
	s_delay_alu instid0(VALU_DEP_4) | instskip(NEXT) | instid1(VALU_DEP_2)
	v_add_f64 v[48:49], v[68:69], v[48:49]
	v_fma_f64 v[164:165], v[32:33], s[22:23], v[74:75]
	v_fma_f64 v[68:69], v[32:33], s[22:23], -v[74:75]
	s_delay_alu instid0(VALU_DEP_2) | instskip(SKIP_1) | instid1(VALU_DEP_3)
	v_add_f64 v[54:55], v[164:165], v[54:55]
	v_mul_f64 v[164:165], v[225:226], s[22:23]
	v_add_f64 v[50:51], v[68:69], v[50:51]
	s_delay_alu instid0(VALU_DEP_2) | instskip(SKIP_1) | instid1(VALU_DEP_2)
	v_fma_f64 v[166:167], v[34:35], s[52:53], v[164:165]
	v_fma_f64 v[68:69], v[34:35], s[2:3], v[164:165]
	v_add_f64 v[52:53], v[166:167], v[52:53]
	v_mul_f64 v[166:167], v[222:223], s[44:45]
	s_delay_alu instid0(VALU_DEP_3) | instskip(NEXT) | instid1(VALU_DEP_2)
	v_add_f64 v[48:49], v[68:69], v[48:49]
	v_fma_f64 v[168:169], v[24:25], s[34:35], v[166:167]
	v_fma_f64 v[68:69], v[24:25], s[34:35], -v[166:167]
	s_delay_alu instid0(VALU_DEP_2) | instskip(SKIP_1) | instid1(VALU_DEP_3)
	v_add_f64 v[54:55], v[168:169], v[54:55]
	v_mul_f64 v[168:169], v[220:221], s[34:35]
	v_add_f64 v[50:51], v[68:69], v[50:51]
	s_delay_alu instid0(VALU_DEP_2) | instskip(SKIP_1) | instid1(VALU_DEP_2)
	v_fma_f64 v[170:171], v[26:27], s[20:21], v[168:169]
	v_fma_f64 v[68:69], v[26:27], s[44:45], v[168:169]
	v_add_f64 v[52:53], v[170:171], v[52:53]
	v_mul_f64 v[170:171], v[42:43], s[8:9]
	s_delay_alu instid0(VALU_DEP_3) | instskip(SKIP_1) | instid1(VALU_DEP_3)
	v_add_f64 v[48:49], v[68:69], v[48:49]
	v_mul_f64 v[42:43], v[42:43], s[10:11]
	v_fma_f64 v[233:234], v[16:17], s[24:25], v[170:171]
	v_fma_f64 v[68:69], v[16:17], s[24:25], -v[170:171]
	s_delay_alu instid0(VALU_DEP_2) | instskip(SKIP_1) | instid1(VALU_DEP_3)
	v_add_f64 v[54:55], v[233:234], v[54:55]
	v_mul_f64 v[233:234], v[38:39], s[24:25]
	v_add_f64 v[50:51], v[68:69], v[50:51]
	v_mul_f64 v[38:39], v[38:39], s[26:27]
	s_delay_alu instid0(VALU_DEP_3) | instskip(SKIP_1) | instid1(VALU_DEP_2)
	v_fma_f64 v[235:236], v[20:21], s[50:51], v[233:234]
	v_fma_f64 v[68:69], v[20:21], s[8:9], v[233:234]
	v_add_f64 v[52:53], v[235:236], v[52:53]
	v_mul_f64 v[235:236], v[30:31], s[40:41]
	s_delay_alu instid0(VALU_DEP_3) | instskip(NEXT) | instid1(VALU_DEP_2)
	v_add_f64 v[48:49], v[68:69], v[48:49]
	v_fma_f64 v[237:238], v[10:11], s[30:31], v[235:236]
	v_fma_f64 v[68:69], v[10:11], s[30:31], -v[235:236]
	s_delay_alu instid0(VALU_DEP_2) | instskip(SKIP_1) | instid1(VALU_DEP_3)
	v_add_f64 v[54:55], v[237:238], v[54:55]
	v_mul_f64 v[237:238], v[28:29], s[30:31]
	v_add_f64 v[50:51], v[68:69], v[50:51]
	s_delay_alu instid0(VALU_DEP_2) | instskip(SKIP_1) | instid1(VALU_DEP_2)
	v_fma_f64 v[239:240], v[12:13], s[16:17], v[237:238]
	v_fma_f64 v[68:69], v[12:13], s[40:41], v[237:238]
	v_add_f64 v[52:53], v[239:240], v[52:53]
	v_mul_f64 v[239:240], v[22:23], s[10:11]
	s_delay_alu instid0(VALU_DEP_3) | instskip(SKIP_1) | instid1(VALU_DEP_3)
	v_add_f64 v[48:49], v[68:69], v[48:49]
	v_mul_f64 v[22:23], v[22:23], s[2:3]
	v_fma_f64 v[242:243], v[4:5], s[26:27], v[239:240]
	v_fma_f64 v[68:69], v[4:5], s[26:27], -v[239:240]
	s_delay_alu instid0(VALU_DEP_2) | instskip(SKIP_1) | instid1(VALU_DEP_3)
	v_add_f64 v[54:55], v[242:243], v[54:55]
	v_mul_f64 v[242:243], v[18:19], s[26:27]
	v_add_f64 v[50:51], v[68:69], v[50:51]
	v_mul_f64 v[18:19], v[18:19], s[22:23]
	s_delay_alu instid0(VALU_DEP_3) | instskip(SKIP_1) | instid1(VALU_DEP_2)
	v_fma_f64 v[68:69], v[6:7], s[10:11], v[242:243]
	v_fma_f64 v[244:245], v[6:7], s[48:49], v[242:243]
	v_add_f64 v[68:69], v[68:69], v[48:49]
	v_fma_f64 v[48:49], v[0:1], s[28:29], -v[246:247]
	s_delay_alu instid0(VALU_DEP_3) | instskip(SKIP_1) | instid1(VALU_DEP_3)
	v_add_f64 v[244:245], v[244:245], v[52:53]
	v_fma_f64 v[52:53], v[0:1], s[28:29], v[246:247]
	v_add_f64 v[48:49], v[48:49], v[50:51]
	v_add_f64 v[50:51], v[72:73], v[68:69]
	v_mul_f64 v[68:69], v[231:232], s[20:21]
	s_delay_alu instid0(VALU_DEP_4) | instskip(SKIP_1) | instid1(VALU_DEP_3)
	v_add_f64 v[52:53], v[52:53], v[54:55]
	v_fma_f64 v[54:55], v[2:3], s[14:15], v[248:249]
	v_fma_f64 v[72:73], v[36:37], s[34:35], -v[68:69]
	v_fma_f64 v[36:37], v[36:37], s[34:35], v[68:69]
	s_delay_alu instid0(VALU_DEP_3) | instskip(NEXT) | instid1(VALU_DEP_3)
	v_add_f64 v[54:55], v[54:55], v[244:245]
	v_add_f64 v[46:47], v[72:73], v[46:47]
	v_mul_f64 v[72:73], v[229:230], s[34:35]
	s_delay_alu instid0(VALU_DEP_4) | instskip(NEXT) | instid1(VALU_DEP_2)
	v_add_f64 v[36:37], v[36:37], v[70:71]
	v_fma_f64 v[74:75], v[40:41], s[20:21], v[72:73]
	v_fma_f64 v[40:41], v[40:41], s[44:45], v[72:73]
	s_delay_alu instid0(VALU_DEP_2) | instskip(SKIP_1) | instid1(VALU_DEP_3)
	v_add_f64 v[44:45], v[74:75], v[44:45]
	v_mul_f64 v[74:75], v[227:228], s[16:17]
	v_add_f64 v[40:41], v[40:41], v[132:133]
	s_delay_alu instid0(VALU_DEP_2) | instskip(SKIP_1) | instid1(VALU_DEP_2)
	v_fma_f64 v[164:165], v[32:33], s[30:31], -v[74:75]
	v_fma_f64 v[32:33], v[32:33], s[30:31], v[74:75]
	v_add_f64 v[46:47], v[164:165], v[46:47]
	v_mul_f64 v[164:165], v[225:226], s[30:31]
	s_delay_alu instid0(VALU_DEP_3) | instskip(NEXT) | instid1(VALU_DEP_2)
	v_add_f64 v[32:33], v[32:33], v[36:37]
	v_fma_f64 v[166:167], v[34:35], s[16:17], v[164:165]
	v_fma_f64 v[34:35], v[34:35], s[40:41], v[164:165]
	s_delay_alu instid0(VALU_DEP_2) | instskip(SKIP_1) | instid1(VALU_DEP_3)
	v_add_f64 v[44:45], v[166:167], v[44:45]
	v_mul_f64 v[166:167], v[222:223], s[14:15]
	v_add_f64 v[34:35], v[34:35], v[40:41]
	s_delay_alu instid0(VALU_DEP_2) | instskip(SKIP_1) | instid1(VALU_DEP_2)
	v_fma_f64 v[168:169], v[24:25], s[28:29], -v[166:167]
	v_fma_f64 v[24:25], v[24:25], s[28:29], v[166:167]
	v_add_f64 v[46:47], v[168:169], v[46:47]
	v_mul_f64 v[168:169], v[220:221], s[28:29]
	s_delay_alu instid0(VALU_DEP_3) | instskip(NEXT) | instid1(VALU_DEP_2)
	v_add_f64 v[24:25], v[24:25], v[32:33]
	v_fma_f64 v[170:171], v[26:27], s[14:15], v[168:169]
	v_fma_f64 v[26:27], v[26:27], s[38:39], v[168:169]
	s_delay_alu instid0(VALU_DEP_2) | instskip(SKIP_2) | instid1(VALU_DEP_4)
	v_add_f64 v[44:45], v[170:171], v[44:45]
	v_fma_f64 v[170:171], v[16:17], s[26:27], -v[42:43]
	v_fma_f64 v[16:17], v[16:17], s[26:27], v[42:43]
	v_add_f64 v[26:27], v[26:27], v[34:35]
	s_delay_alu instid0(VALU_DEP_3) | instskip(SKIP_3) | instid1(VALU_DEP_3)
	v_add_f64 v[46:47], v[170:171], v[46:47]
	v_fma_f64 v[170:171], v[20:21], s[10:11], v[38:39]
	v_fma_f64 v[20:21], v[20:21], s[48:49], v[38:39]
	v_add_f64 v[16:17], v[16:17], v[24:25]
	v_add_f64 v[44:45], v[170:171], v[44:45]
	v_mul_f64 v[170:171], v[30:31], s[8:9]
	s_delay_alu instid0(VALU_DEP_4) | instskip(NEXT) | instid1(VALU_DEP_2)
	v_add_f64 v[20:21], v[20:21], v[26:27]
	v_fma_f64 v[30:31], v[10:11], s[24:25], -v[170:171]
	v_fma_f64 v[10:11], v[10:11], s[24:25], v[170:171]
	s_delay_alu instid0(VALU_DEP_2) | instskip(SKIP_1) | instid1(VALU_DEP_3)
	v_add_f64 v[30:31], v[30:31], v[46:47]
	v_mul_f64 v[46:47], v[28:29], s[24:25]
	v_add_f64 v[10:11], v[10:11], v[16:17]
	s_delay_alu instid0(VALU_DEP_2) | instskip(SKIP_1) | instid1(VALU_DEP_2)
	v_fma_f64 v[28:29], v[12:13], s[8:9], v[46:47]
	v_fma_f64 v[12:13], v[12:13], s[50:51], v[46:47]
	v_add_f64 v[28:29], v[28:29], v[44:45]
	v_fma_f64 v[44:45], v[4:5], s[22:23], -v[22:23]
	v_fma_f64 v[4:5], v[4:5], s[22:23], v[22:23]
	s_delay_alu instid0(VALU_DEP_4) | instskip(NEXT) | instid1(VALU_DEP_3)
	v_add_f64 v[12:13], v[12:13], v[20:21]
	v_add_f64 v[30:31], v[44:45], v[30:31]
	v_fma_f64 v[44:45], v[6:7], s[2:3], v[18:19]
	v_fma_f64 v[6:7], v[6:7], s[52:53], v[18:19]
	v_add_f64 v[4:5], v[4:5], v[10:11]
	s_delay_alu instid0(VALU_DEP_3) | instskip(SKIP_3) | instid1(VALU_DEP_3)
	v_add_f64 v[44:45], v[44:45], v[28:29]
	v_fma_f64 v[28:29], v[0:1], s[18:19], -v[14:15]
	v_fma_f64 v[0:1], v[0:1], s[18:19], v[14:15]
	v_add_f64 v[6:7], v[6:7], v[12:13]
	v_add_f64 v[28:29], v[28:29], v[30:31]
	v_fma_f64 v[30:31], v[2:3], s[0:1], v[8:9]
	v_fma_f64 v[2:3], v[2:3], s[54:55], v[8:9]
	v_add_f64 v[0:1], v[0:1], v[4:5]
	s_delay_alu instid0(VALU_DEP_3) | instskip(NEXT) | instid1(VALU_DEP_3)
	v_add_f64 v[30:31], v[30:31], v[44:45]
	v_add_f64 v[2:3], v[2:3], v[6:7]
	ds_store_b128 v241, v[192:195] offset:32
	ds_store_b128 v241, v[200:203] offset:48
	;; [unrolled: 1-line block ×16, first 2 shown]
	ds_store_b128 v241, v[188:191]
	s_waitcnt lgkmcnt(0)
	s_barrier
	buffer_gl0_inv
	ds_load_b128 v[184:187], v255 offset:816
	ds_load_b128 v[0:3], v255
	s_waitcnt lgkmcnt(1)
	v_mul_f64 v[4:5], v[86:87], v[186:187]
	s_delay_alu instid0(VALU_DEP_1) | instskip(SKIP_1) | instid1(VALU_DEP_1)
	v_fma_f64 v[12:13], v[84:85], v[184:185], v[4:5]
	v_mul_f64 v[4:5], v[86:87], v[184:185]
	v_fma_f64 v[14:15], v[84:85], v[186:187], -v[4:5]
	ds_load_b128 v[4:7], v255 offset:1632
	ds_load_b128 v[8:11], v255 offset:2448
	s_waitcnt lgkmcnt(1)
	v_mul_f64 v[16:17], v[78:79], v[6:7]
	s_delay_alu instid0(VALU_DEP_1) | instskip(SKIP_2) | instid1(VALU_DEP_1)
	v_fma_f64 v[184:185], v[76:77], v[4:5], v[16:17]
	scratch_load_b128 v[16:19], off, off offset:316 ; 16-byte Folded Reload
	v_mul_f64 v[4:5], v[78:79], v[4:5]
	v_fma_f64 v[186:187], v[76:77], v[6:7], -v[4:5]
	s_waitcnt vmcnt(0) lgkmcnt(0)
	v_mul_f64 v[4:5], v[18:19], v[10:11]
	s_delay_alu instid0(VALU_DEP_1) | instskip(SKIP_1) | instid1(VALU_DEP_1)
	v_fma_f64 v[188:189], v[16:17], v[8:9], v[4:5]
	v_mul_f64 v[4:5], v[18:19], v[8:9]
	v_fma_f64 v[190:191], v[16:17], v[10:11], -v[4:5]
	ds_load_b128 v[4:7], v255 offset:3264
	ds_load_b128 v[8:11], v255 offset:4080
	scratch_load_b128 v[18:21], off, off offset:300 ; 16-byte Folded Reload
	s_waitcnt vmcnt(0) lgkmcnt(1)
	v_mul_f64 v[16:17], v[20:21], v[6:7]
	s_delay_alu instid0(VALU_DEP_1) | instskip(SKIP_1) | instid1(VALU_DEP_1)
	v_fma_f64 v[192:193], v[18:19], v[4:5], v[16:17]
	v_mul_f64 v[4:5], v[20:21], v[4:5]
	v_fma_f64 v[194:195], v[18:19], v[6:7], -v[4:5]
	s_waitcnt lgkmcnt(0)
	v_mul_f64 v[4:5], v[102:103], v[10:11]
	s_delay_alu instid0(VALU_DEP_1) | instskip(SKIP_1) | instid1(VALU_DEP_1)
	v_fma_f64 v[196:197], v[100:101], v[8:9], v[4:5]
	v_mul_f64 v[4:5], v[102:103], v[8:9]
	v_fma_f64 v[198:199], v[100:101], v[10:11], -v[4:5]
	ds_load_b128 v[4:7], v255 offset:4896
	ds_load_b128 v[8:11], v255 offset:5712
	s_waitcnt lgkmcnt(1)
	v_mul_f64 v[16:17], v[94:95], v[6:7]
	s_delay_alu instid0(VALU_DEP_1) | instskip(SKIP_1) | instid1(VALU_DEP_1)
	v_fma_f64 v[200:201], v[92:93], v[4:5], v[16:17]
	v_mul_f64 v[4:5], v[94:95], v[4:5]
	v_fma_f64 v[202:203], v[92:93], v[6:7], -v[4:5]
	s_waitcnt lgkmcnt(0)
	v_mul_f64 v[4:5], v[90:91], v[10:11]
	s_delay_alu instid0(VALU_DEP_1) | instskip(SKIP_1) | instid1(VALU_DEP_1)
	v_fma_f64 v[204:205], v[88:89], v[8:9], v[4:5]
	v_mul_f64 v[4:5], v[90:91], v[8:9]
	v_fma_f64 v[88:89], v[88:89], v[10:11], -v[4:5]
	ds_load_b128 v[4:7], v255 offset:6528
	ds_load_b128 v[8:11], v255 offset:7344
	s_waitcnt lgkmcnt(1)
	;; [unrolled: 14-line block ×3, first 2 shown]
	v_mul_f64 v[16:17], v[110:111], v[6:7]
	v_add_f64 v[251:252], v[206:207], -v[116:117]
	v_add_f64 v[253:254], v[206:207], v[116:117]
	s_delay_alu instid0(VALU_DEP_3) | instskip(SKIP_1) | instid1(VALU_DEP_4)
	v_fma_f64 v[118:119], v[108:109], v[4:5], v[16:17]
	v_mul_f64 v[4:5], v[110:111], v[4:5]
	v_mul_f64 v[132:133], v[251:252], s[42:43]
	s_delay_alu instid0(VALU_DEP_4) | instskip(SKIP_1) | instid1(VALU_DEP_4)
	v_mul_f64 v[241:242], v[253:254], s[18:19]
	v_mul_f64 v[134:135], v[253:254], s[36:37]
	v_fma_f64 v[108:109], v[108:109], v[6:7], -v[4:5]
	s_waitcnt lgkmcnt(0)
	v_mul_f64 v[4:5], v[106:107], v[10:11]
	s_delay_alu instid0(VALU_DEP_2) | instskip(NEXT) | instid1(VALU_DEP_2)
	v_add_f64 v[180:181], v[88:89], v[108:109]
	v_fma_f64 v[110:111], v[104:105], v[8:9], v[4:5]
	v_mul_f64 v[4:5], v[106:107], v[8:9]
	s_delay_alu instid0(VALU_DEP_1) | instskip(SKIP_4) | instid1(VALU_DEP_1)
	v_fma_f64 v[210:211], v[104:105], v[10:11], -v[4:5]
	ds_load_b128 v[4:7], v255 offset:9792
	ds_load_b128 v[8:11], v255 offset:10608
	s_waitcnt lgkmcnt(1)
	v_mul_f64 v[16:17], v[98:99], v[6:7]
	v_fma_f64 v[212:213], v[96:97], v[4:5], v[16:17]
	v_mul_f64 v[4:5], v[98:99], v[4:5]
	s_delay_alu instid0(VALU_DEP_1) | instskip(SKIP_2) | instid1(VALU_DEP_1)
	v_fma_f64 v[214:215], v[96:97], v[6:7], -v[4:5]
	s_waitcnt lgkmcnt(0)
	v_mul_f64 v[4:5], v[130:131], v[10:11]
	v_fma_f64 v[216:217], v[128:129], v[8:9], v[4:5]
	v_mul_f64 v[4:5], v[130:131], v[8:9]
	s_delay_alu instid0(VALU_DEP_1) | instskip(SKIP_4) | instid1(VALU_DEP_1)
	v_fma_f64 v[128:129], v[128:129], v[10:11], -v[4:5]
	ds_load_b128 v[4:7], v255 offset:11424
	ds_load_b128 v[8:11], v255 offset:12240
	s_waitcnt lgkmcnt(1)
	v_mul_f64 v[16:17], v[126:127], v[6:7]
	v_fma_f64 v[130:131], v[124:125], v[4:5], v[16:17]
	v_mul_f64 v[4:5], v[126:127], v[4:5]
	s_delay_alu instid0(VALU_DEP_2) | instskip(NEXT) | instid1(VALU_DEP_2)
	v_add_f64 v[245:246], v[188:189], v[130:131]
	v_fma_f64 v[124:125], v[124:125], v[6:7], -v[4:5]
	s_waitcnt lgkmcnt(0)
	v_mul_f64 v[4:5], v[122:123], v[10:11]
	v_add_f64 v[249:250], v[188:189], -v[130:131]
	s_delay_alu instid0(VALU_DEP_2) | instskip(SKIP_1) | instid1(VALU_DEP_2)
	v_fma_f64 v[126:127], v[120:121], v[8:9], v[4:5]
	v_mul_f64 v[4:5], v[122:123], v[8:9]
	v_add_f64 v[229:230], v[184:185], v[126:127]
	s_delay_alu instid0(VALU_DEP_2) | instskip(SKIP_4) | instid1(VALU_DEP_1)
	v_fma_f64 v[120:121], v[120:121], v[10:11], -v[4:5]
	ds_load_b128 v[4:7], v255 offset:13056
	v_add_f64 v[233:234], v[184:185], -v[126:127]
	s_waitcnt lgkmcnt(0)
	v_mul_f64 v[8:9], v[114:115], v[4:5]
	v_fma_f64 v[122:123], v[112:113], v[6:7], -v[8:9]
	v_mul_f64 v[6:7], v[114:115], v[6:7]
	s_delay_alu instid0(VALU_DEP_1) | instskip(NEXT) | instid1(VALU_DEP_3)
	v_fma_f64 v[112:113], v[112:113], v[4:5], v[6:7]
	v_add_f64 v[4:5], v[14:15], -v[122:123]
	s_delay_alu instid0(VALU_DEP_2) | instskip(NEXT) | instid1(VALU_DEP_2)
	v_add_f64 v[24:25], v[12:13], v[112:113]
	v_mul_f64 v[6:7], v[4:5], s[46:47]
	v_mul_f64 v[8:9], v[4:5], s[20:21]
	;; [unrolled: 1-line block ×8, first 2 shown]
	v_add_f64 v[56:57], v[12:13], -v[112:113]
	v_add_f64 v[12:13], v[0:1], v[12:13]
	v_fma_f64 v[26:27], v[24:25], s[36:37], v[6:7]
	v_fma_f64 v[6:7], v[24:25], s[36:37], -v[6:7]
	v_fma_f64 v[28:29], v[24:25], s[34:35], v[8:9]
	v_fma_f64 v[8:9], v[24:25], s[34:35], -v[8:9]
	;; [unrolled: 2-line block ×8, first 2 shown]
	v_add_f64 v[24:25], v[14:15], v[122:123]
	v_add_f64 v[26:27], v[0:1], v[26:27]
	v_add_f64 v[6:7], v[0:1], v[6:7]
	scratch_store_b64 off, v[12:13], off offset:364 ; 8-byte Folded Spill
	v_add_f64 v[12:13], v[2:3], v[14:15]
	v_add_f64 v[78:79], v[0:1], v[28:29]
	;; [unrolled: 1-line block ×11, first 2 shown]
	v_add_f64 v[16:17], v[190:191], -v[124:125]
	v_add_f64 v[20:21], v[190:191], v[124:125]
	v_mul_f64 v[42:43], v[24:25], s[36:37]
	v_mul_f64 v[54:55], v[24:25], s[22:23]
	;; [unrolled: 1-line block ×8, first 2 shown]
	v_add_f64 v[28:29], v[192:193], -v[216:217]
	v_add_f64 v[32:33], v[196:197], v[212:213]
	scratch_store_b64 off, v[6:7], off offset:300 ; 8-byte Folded Spill
	v_mul_f64 v[247:248], v[16:17], s[16:17]
	v_mul_f64 v[243:244], v[20:21], s[30:31]
	v_fma_f64 v[58:59], v[56:57], s[42:43], v[42:43]
	v_fma_f64 v[42:43], v[56:57], s[46:47], v[42:43]
	;; [unrolled: 1-line block ×17, first 2 shown]
	v_add_f64 v[56:57], v[2:3], v[58:59]
	v_add_f64 v[6:7], v[2:3], v[42:43]
	scratch_store_b64 off, v[12:13], off offset:372 ; 8-byte Folded Spill
	v_add_f64 v[12:13], v[0:1], v[36:37]
	v_add_f64 v[76:77], v[2:3], v[60:61]
	;; [unrolled: 1-line block ×13, first 2 shown]
	v_add_f64 v[46:47], v[198:199], -v[214:215]
	v_add_f64 v[48:49], v[198:199], v[214:215]
	v_add_f64 v[36:37], v[196:197], -v[212:213]
	v_add_f64 v[44:45], v[200:201], v[110:111]
	v_add_f64 v[64:65], v[202:203], v[210:211]
	v_add_f64 v[52:53], v[200:201], -v[110:111]
	v_add_f64 v[58:59], v[204:205], v[118:119]
	v_add_f64 v[62:63], v[204:205], -v[118:119]
	v_mul_f64 v[66:67], v[180:181], s[22:23]
	scratch_store_b64 off, v[6:7], off offset:316 ; 8-byte Folded Spill
	v_add_f64 v[6:7], v[0:1], v[22:23]
	v_mul_f64 v[30:31], v[42:43], s[28:29]
	v_mul_f64 v[34:35], v[46:47], s[10:11]
	;; [unrolled: 1-line block ×3, first 2 shown]
	scratch_store_b64 off, v[6:7], off offset:420 ; 8-byte Folded Spill
	v_add_f64 v[6:7], v[2:3], v[54:55]
	v_mul_f64 v[54:55], v[64:65], s[24:25]
	scratch_store_b64 off, v[6:7], off offset:412 ; 8-byte Folded Spill
	v_add_f64 v[6:7], v[0:1], v[40:41]
	v_add_f64 v[0:1], v[0:1], v[4:5]
	;; [unrolled: 1-line block ×3, first 2 shown]
	v_add_f64 v[40:41], v[194:195], -v[128:129]
	s_clause 0x1
	scratch_store_b64 off, v[6:7], off offset:404
	scratch_store_b64 off, v[0:1], off offset:388
	v_add_f64 v[6:7], v[2:3], v[98:99]
	v_add_f64 v[0:1], v[2:3], v[24:25]
	v_add_f64 v[2:3], v[186:187], -v[120:121]
	v_mul_f64 v[235:236], v[4:5], s[34:35]
	v_add_f64 v[24:25], v[192:193], v[216:217]
	s_clause 0x1
	scratch_store_b64 off, v[6:7], off offset:396
	scratch_store_b64 off, v[0:1], off offset:380
	v_mul_f64 v[231:232], v[2:3], s[20:21]
	v_fma_f64 v[6:7], v[233:234], s[44:45], v[235:236]
	s_delay_alu instid0(VALU_DEP_2) | instskip(NEXT) | instid1(VALU_DEP_2)
	v_fma_f64 v[0:1], v[229:230], s[34:35], v[231:232]
	v_add_f64 v[6:7], v[6:7], v[56:57]
	v_add_f64 v[56:57], v[202:203], -v[210:211]
	s_delay_alu instid0(VALU_DEP_3) | instskip(SKIP_1) | instid1(VALU_DEP_3)
	v_add_f64 v[0:1], v[0:1], v[26:27]
	v_mul_f64 v[26:27], v[40:41], s[14:15]
	v_mul_f64 v[50:51], v[56:57], s[8:9]
	s_delay_alu instid0(VALU_DEP_3) | instskip(SKIP_1) | instid1(VALU_DEP_1)
	v_add_f64 v[0:1], v[18:19], v[0:1]
	v_fma_f64 v[18:19], v[249:250], s[40:41], v[243:244]
	v_add_f64 v[6:7], v[18:19], v[6:7]
	v_fma_f64 v[18:19], v[24:25], s[28:29], v[26:27]
	s_delay_alu instid0(VALU_DEP_1) | instskip(SKIP_1) | instid1(VALU_DEP_1)
	v_add_f64 v[0:1], v[18:19], v[0:1]
	v_fma_f64 v[18:19], v[28:29], s[38:39], v[30:31]
	v_add_f64 v[6:7], v[18:19], v[6:7]
	v_fma_f64 v[18:19], v[32:33], s[26:27], v[34:35]
	s_delay_alu instid0(VALU_DEP_1) | instskip(SKIP_1) | instid1(VALU_DEP_1)
	;; [unrolled: 5-line block ×3, first 2 shown]
	v_add_f64 v[0:1], v[18:19], v[0:1]
	v_fma_f64 v[18:19], v[52:53], s[50:51], v[54:55]
	v_add_f64 v[6:7], v[18:19], v[6:7]
	v_add_f64 v[18:19], v[88:89], -v[108:109]
	s_delay_alu instid0(VALU_DEP_1) | instskip(NEXT) | instid1(VALU_DEP_1)
	v_mul_f64 v[60:61], v[18:19], s[2:3]
	v_fma_f64 v[22:23], v[58:59], s[22:23], v[60:61]
	s_delay_alu instid0(VALU_DEP_1) | instskip(SKIP_1) | instid1(VALU_DEP_1)
	v_add_f64 v[22:23], v[22:23], v[0:1]
	v_fma_f64 v[0:1], v[62:63], s[52:53], v[66:67]
	v_add_f64 v[74:75], v[0:1], v[6:7]
	v_add_f64 v[0:1], v[90:91], v[208:209]
	v_mul_f64 v[6:7], v[251:252], s[0:1]
	s_delay_alu instid0(VALU_DEP_1) | instskip(NEXT) | instid1(VALU_DEP_1)
	v_fma_f64 v[72:73], v[0:1], s[18:19], v[6:7]
	v_add_f64 v[72:73], v[72:73], v[22:23]
	v_add_f64 v[22:23], v[90:91], -v[208:209]
	s_delay_alu instid0(VALU_DEP_1) | instskip(NEXT) | instid1(VALU_DEP_1)
	v_fma_f64 v[98:99], v[22:23], s[54:55], v[241:242]
	v_add_f64 v[74:75], v[98:99], v[74:75]
	v_mul_f64 v[98:99], v[2:3], s[14:15]
	s_delay_alu instid0(VALU_DEP_1) | instskip(SKIP_1) | instid1(VALU_DEP_2)
	v_fma_f64 v[164:165], v[229:230], s[28:29], v[98:99]
	v_fma_f64 v[98:99], v[229:230], s[28:29], -v[98:99]
	v_add_f64 v[78:79], v[164:165], v[78:79]
	v_mul_f64 v[164:165], v[4:5], s[28:29]
	s_delay_alu instid0(VALU_DEP_3) | instskip(NEXT) | instid1(VALU_DEP_2)
	v_add_f64 v[70:71], v[98:99], v[70:71]
	v_fma_f64 v[166:167], v[233:234], s[38:39], v[164:165]
	v_fma_f64 v[98:99], v[233:234], s[14:15], v[164:165]
	s_delay_alu instid0(VALU_DEP_2) | instskip(SKIP_1) | instid1(VALU_DEP_3)
	v_add_f64 v[76:77], v[166:167], v[76:77]
	v_mul_f64 v[166:167], v[16:17], s[8:9]
	v_add_f64 v[68:69], v[98:99], v[68:69]
	s_delay_alu instid0(VALU_DEP_2) | instskip(SKIP_1) | instid1(VALU_DEP_2)
	v_fma_f64 v[168:169], v[245:246], s[24:25], v[166:167]
	v_fma_f64 v[98:99], v[245:246], s[24:25], -v[166:167]
	v_add_f64 v[78:79], v[168:169], v[78:79]
	v_mul_f64 v[168:169], v[20:21], s[24:25]
	s_delay_alu instid0(VALU_DEP_3) | instskip(NEXT) | instid1(VALU_DEP_2)
	v_add_f64 v[70:71], v[98:99], v[70:71]
	v_fma_f64 v[170:171], v[249:250], s[50:51], v[168:169]
	v_fma_f64 v[98:99], v[249:250], s[8:9], v[168:169]
	s_delay_alu instid0(VALU_DEP_2) | instskip(SKIP_1) | instid1(VALU_DEP_3)
	v_add_f64 v[76:77], v[170:171], v[76:77]
	v_mul_f64 v[170:171], v[40:41], s[0:1]
	v_add_f64 v[68:69], v[98:99], v[68:69]
	s_delay_alu instid0(VALU_DEP_2) | instskip(SKIP_1) | instid1(VALU_DEP_2)
	;; [unrolled: 13-line block ×3, first 2 shown]
	v_fma_f64 v[237:238], v[32:33], s[22:23], v[227:228]
	v_fma_f64 v[98:99], v[32:33], s[22:23], -v[227:228]
	v_add_f64 v[78:79], v[237:238], v[78:79]
	v_mul_f64 v[237:238], v[48:49], s[22:23]
	s_delay_alu instid0(VALU_DEP_3) | instskip(NEXT) | instid1(VALU_DEP_2)
	v_add_f64 v[70:71], v[98:99], v[70:71]
	v_fma_f64 v[239:240], v[36:37], s[2:3], v[237:238]
	v_fma_f64 v[98:99], v[36:37], s[52:53], v[237:238]
	v_mul_f64 v[237:238], v[251:252], s[2:3]
	s_delay_alu instid0(VALU_DEP_3) | instskip(SKIP_1) | instid1(VALU_DEP_4)
	v_add_f64 v[76:77], v[239:240], v[76:77]
	v_mul_f64 v[239:240], v[56:57], s[48:49]
	v_add_f64 v[68:69], v[98:99], v[68:69]
	s_delay_alu instid0(VALU_DEP_2) | instskip(SKIP_2) | instid1(VALU_DEP_3)
	v_fma_f64 v[222:223], v[44:45], s[26:27], v[239:240]
	v_fma_f64 v[98:99], v[44:45], s[26:27], -v[239:240]
	v_mul_f64 v[239:240], v[253:254], s[22:23]
	v_add_f64 v[78:79], v[222:223], v[78:79]
	v_mul_f64 v[222:223], v[64:65], s[26:27]
	s_delay_alu instid0(VALU_DEP_4) | instskip(NEXT) | instid1(VALU_DEP_2)
	v_add_f64 v[70:71], v[98:99], v[70:71]
	v_fma_f64 v[220:221], v[52:53], s[10:11], v[222:223]
	v_fma_f64 v[98:99], v[52:53], s[48:49], v[222:223]
	s_delay_alu instid0(VALU_DEP_2) | instskip(SKIP_1) | instid1(VALU_DEP_3)
	v_add_f64 v[76:77], v[220:221], v[76:77]
	v_mul_f64 v[220:221], v[18:19], s[40:41]
	v_add_f64 v[68:69], v[98:99], v[68:69]
	s_delay_alu instid0(VALU_DEP_2) | instskip(SKIP_1) | instid1(VALU_DEP_2)
	v_fma_f64 v[182:183], v[58:59], s[30:31], v[220:221]
	v_fma_f64 v[98:99], v[58:59], s[30:31], -v[220:221]
	v_add_f64 v[78:79], v[182:183], v[78:79]
	v_mul_f64 v[182:183], v[180:181], s[30:31]
	s_delay_alu instid0(VALU_DEP_3) | instskip(NEXT) | instid1(VALU_DEP_2)
	v_add_f64 v[70:71], v[98:99], v[70:71]
	v_fma_f64 v[218:219], v[62:63], s[16:17], v[182:183]
	v_fma_f64 v[98:99], v[62:63], s[40:41], v[182:183]
	s_delay_alu instid0(VALU_DEP_2) | instskip(SKIP_1) | instid1(VALU_DEP_3)
	v_add_f64 v[218:219], v[218:219], v[76:77]
	v_fma_f64 v[76:77], v[0:1], s[36:37], v[132:133]
	v_add_f64 v[98:99], v[98:99], v[68:69]
	v_fma_f64 v[68:69], v[0:1], s[36:37], -v[132:133]
	v_fma_f64 v[132:133], v[22:23], s[42:43], v[134:135]
	s_delay_alu instid0(VALU_DEP_4) | instskip(SKIP_1) | instid1(VALU_DEP_4)
	v_add_f64 v[76:77], v[76:77], v[78:79]
	v_fma_f64 v[78:79], v[22:23], s[46:47], v[134:135]
	v_add_f64 v[68:69], v[68:69], v[70:71]
	s_delay_alu instid0(VALU_DEP_4) | instskip(SKIP_1) | instid1(VALU_DEP_4)
	v_add_f64 v[70:71], v[132:133], v[98:99]
	v_mul_f64 v[98:99], v[2:3], s[8:9]
	v_add_f64 v[78:79], v[78:79], v[218:219]
	s_delay_alu instid0(VALU_DEP_2) | instskip(SKIP_1) | instid1(VALU_DEP_2)
	v_fma_f64 v[132:133], v[229:230], s[24:25], v[98:99]
	v_fma_f64 v[98:99], v[229:230], s[24:25], -v[98:99]
	v_add_f64 v[86:87], v[132:133], v[86:87]
	v_mul_f64 v[132:133], v[4:5], s[24:25]
	s_delay_alu instid0(VALU_DEP_3) | instskip(NEXT) | instid1(VALU_DEP_2)
	v_add_f64 v[82:83], v[98:99], v[82:83]
	v_fma_f64 v[134:135], v[233:234], s[50:51], v[132:133]
	v_fma_f64 v[98:99], v[233:234], s[8:9], v[132:133]
	;; [unrolled: 1-line block ×3, first 2 shown]
	s_delay_alu instid0(VALU_DEP_3) | instskip(SKIP_1) | instid1(VALU_DEP_4)
	v_add_f64 v[84:85], v[134:135], v[84:85]
	v_mul_f64 v[134:135], v[16:17], s[54:55]
	v_add_f64 v[80:81], v[98:99], v[80:81]
	s_delay_alu instid0(VALU_DEP_2) | instskip(SKIP_2) | instid1(VALU_DEP_3)
	v_fma_f64 v[164:165], v[245:246], s[18:19], v[134:135]
	v_fma_f64 v[98:99], v[245:246], s[18:19], -v[134:135]
	v_mul_f64 v[134:135], v[4:5], s[18:19]
	v_add_f64 v[86:87], v[164:165], v[86:87]
	v_mul_f64 v[164:165], v[20:21], s[18:19]
	s_delay_alu instid0(VALU_DEP_4) | instskip(NEXT) | instid1(VALU_DEP_2)
	v_add_f64 v[82:83], v[98:99], v[82:83]
	v_fma_f64 v[166:167], v[249:250], s[0:1], v[164:165]
	v_fma_f64 v[98:99], v[249:250], s[54:55], v[164:165]
	v_mul_f64 v[164:165], v[16:17], s[48:49]
	s_delay_alu instid0(VALU_DEP_3) | instskip(SKIP_1) | instid1(VALU_DEP_4)
	v_add_f64 v[84:85], v[166:167], v[84:85]
	v_mul_f64 v[166:167], v[40:41], s[48:49]
	v_add_f64 v[80:81], v[98:99], v[80:81]
	s_delay_alu instid0(VALU_DEP_2) | instskip(SKIP_2) | instid1(VALU_DEP_3)
	v_fma_f64 v[168:169], v[24:25], s[26:27], v[166:167]
	v_fma_f64 v[98:99], v[24:25], s[26:27], -v[166:167]
	v_mul_f64 v[166:167], v[20:21], s[26:27]
	v_add_f64 v[86:87], v[168:169], v[86:87]
	v_mul_f64 v[168:169], v[42:43], s[26:27]
	s_delay_alu instid0(VALU_DEP_4) | instskip(NEXT) | instid1(VALU_DEP_2)
	v_add_f64 v[82:83], v[98:99], v[82:83]
	v_fma_f64 v[170:171], v[28:29], s[10:11], v[168:169]
	v_fma_f64 v[98:99], v[28:29], s[48:49], v[168:169]
	v_mul_f64 v[168:169], v[40:41], s[42:43]
	;; [unrolled: 15-line block ×5, first 2 shown]
	s_delay_alu instid0(VALU_DEP_3) | instskip(SKIP_1) | instid1(VALU_DEP_4)
	v_add_f64 v[98:99], v[98:99], v[80:81]
	v_fma_f64 v[80:81], v[0:1], s[22:23], -v[237:238]
	v_add_f64 v[227:228], v[227:228], v[84:85]
	v_fma_f64 v[84:85], v[0:1], s[22:23], v[237:238]
	v_mul_f64 v[237:238], v[251:252], s[44:45]
	s_delay_alu instid0(VALU_DEP_4) | instskip(SKIP_4) | instid1(VALU_DEP_3)
	v_add_f64 v[80:81], v[80:81], v[82:83]
	v_add_f64 v[82:83], v[132:133], v[98:99]
	v_mul_f64 v[132:133], v[2:3], s[0:1]
	v_add_f64 v[84:85], v[84:85], v[86:87]
	v_fma_f64 v[86:87], v[22:23], s[52:53], v[239:240]
	v_fma_f64 v[98:99], v[229:230], s[18:19], v[132:133]
	v_fma_f64 v[132:133], v[229:230], s[18:19], -v[132:133]
	s_delay_alu instid0(VALU_DEP_3) | instskip(SKIP_1) | instid1(VALU_DEP_4)
	v_add_f64 v[86:87], v[86:87], v[227:228]
	v_mul_f64 v[227:228], v[180:181], s[24:25]
	v_add_f64 v[94:95], v[98:99], v[94:95]
	v_fma_f64 v[98:99], v[233:234], s[54:55], v[134:135]
	v_add_f64 v[106:107], v[132:133], v[106:107]
	v_fma_f64 v[132:133], v[233:234], s[0:1], v[134:135]
	v_mul_f64 v[134:135], v[4:5], s[22:23]
	s_delay_alu instid0(VALU_DEP_4) | instskip(SKIP_1) | instid1(VALU_DEP_4)
	v_add_f64 v[96:97], v[98:99], v[96:97]
	v_fma_f64 v[98:99], v[245:246], s[26:27], v[164:165]
	v_add_f64 v[92:93], v[132:133], v[92:93]
	v_fma_f64 v[132:133], v[245:246], s[26:27], -v[164:165]
	v_mul_f64 v[164:165], v[16:17], s[44:45]
	s_delay_alu instid0(VALU_DEP_4) | instskip(SKIP_1) | instid1(VALU_DEP_4)
	v_add_f64 v[94:95], v[98:99], v[94:95]
	v_fma_f64 v[98:99], v[249:250], s[10:11], v[166:167]
	v_add_f64 v[106:107], v[132:133], v[106:107]
	v_fma_f64 v[132:133], v[249:250], s[48:49], v[166:167]
	v_mul_f64 v[166:167], v[20:21], s[34:35]
	s_delay_alu instid0(VALU_DEP_4) | instskip(SKIP_1) | instid1(VALU_DEP_4)
	v_add_f64 v[96:97], v[98:99], v[96:97]
	v_fma_f64 v[98:99], v[24:25], s[36:37], v[168:169]
	v_add_f64 v[92:93], v[132:133], v[92:93]
	v_fma_f64 v[132:133], v[24:25], s[36:37], -v[168:169]
	v_mul_f64 v[168:169], v[40:41], s[16:17]
	s_delay_alu instid0(VALU_DEP_4) | instskip(SKIP_1) | instid1(VALU_DEP_4)
	;; [unrolled: 12-line block ×6, first 2 shown]
	v_add_f64 v[96:97], v[96:97], v[94:95]
	v_mul_f64 v[94:95], v[253:254], s[34:35]
	v_add_f64 v[92:93], v[92:93], v[106:107]
	s_delay_alu instid0(VALU_DEP_2) | instskip(SKIP_1) | instid1(VALU_DEP_2)
	v_fma_f64 v[239:240], v[22:23], s[20:21], v[94:95]
	v_fma_f64 v[94:95], v[22:23], s[44:45], v[94:95]
	v_add_f64 v[98:99], v[239:240], v[98:99]
	s_delay_alu instid0(VALU_DEP_2) | instskip(SKIP_2) | instid1(VALU_DEP_2)
	v_add_f64 v[94:95], v[94:95], v[132:133]
	v_mul_f64 v[132:133], v[2:3], s[52:53]
	v_mul_f64 v[239:240], v[253:254], s[24:25]
	v_fma_f64 v[106:107], v[229:230], s[22:23], v[132:133]
	s_delay_alu instid0(VALU_DEP_1) | instskip(SKIP_1) | instid1(VALU_DEP_1)
	v_add_f64 v[104:105], v[106:107], v[104:105]
	v_fma_f64 v[106:107], v[233:234], s[2:3], v[134:135]
	v_add_f64 v[102:103], v[106:107], v[102:103]
	v_fma_f64 v[106:107], v[245:246], s[34:35], v[164:165]
	s_delay_alu instid0(VALU_DEP_1) | instskip(SKIP_1) | instid1(VALU_DEP_1)
	v_add_f64 v[104:105], v[106:107], v[104:105]
	v_fma_f64 v[106:107], v[249:250], s[20:21], v[166:167]
	v_add_f64 v[102:103], v[106:107], v[102:103]
	v_fma_f64 v[106:107], v[24:25], s[30:31], v[168:169]
	s_delay_alu instid0(VALU_DEP_1) | instskip(SKIP_1) | instid1(VALU_DEP_1)
	v_add_f64 v[104:105], v[106:107], v[104:105]
	v_fma_f64 v[106:107], v[28:29], s[40:41], v[170:171]
	v_add_f64 v[102:103], v[106:107], v[102:103]
	v_fma_f64 v[106:107], v[32:33], s[18:19], v[182:183]
	s_delay_alu instid0(VALU_DEP_1) | instskip(SKIP_1) | instid1(VALU_DEP_1)
	v_add_f64 v[104:105], v[106:107], v[104:105]
	v_fma_f64 v[106:107], v[36:37], s[54:55], v[218:219]
	v_add_f64 v[102:103], v[106:107], v[102:103]
	v_fma_f64 v[106:107], v[44:45], s[28:29], v[220:221]
	s_delay_alu instid0(VALU_DEP_1) | instskip(SKIP_1) | instid1(VALU_DEP_1)
	v_add_f64 v[104:105], v[106:107], v[104:105]
	v_fma_f64 v[106:107], v[52:53], s[14:15], v[222:223]
	v_add_f64 v[102:103], v[106:107], v[102:103]
	v_fma_f64 v[106:107], v[58:59], s[36:37], v[225:226]
	s_delay_alu instid0(VALU_DEP_1) | instskip(SKIP_1) | instid1(VALU_DEP_1)
	v_add_f64 v[104:105], v[106:107], v[104:105]
	v_fma_f64 v[106:107], v[62:63], s[42:43], v[227:228]
	v_add_f64 v[102:103], v[106:107], v[102:103]
	v_fma_f64 v[106:107], v[0:1], s[24:25], v[237:238]
	s_delay_alu instid0(VALU_DEP_1) | instskip(SKIP_1) | instid1(VALU_DEP_1)
	v_add_f64 v[104:105], v[106:107], v[104:105]
	v_fma_f64 v[106:107], v[22:23], s[50:51], v[239:240]
	v_add_f64 v[106:107], v[106:107], v[102:103]
	v_fma_f64 v[102:103], v[229:230], s[22:23], -v[132:133]
	v_fma_f64 v[132:133], v[22:23], s[8:9], v[239:240]
	v_mul_f64 v[239:240], v[253:254], s[30:31]
	s_delay_alu instid0(VALU_DEP_3) | instskip(SKIP_1) | instid1(VALU_DEP_1)
	v_add_f64 v[100:101], v[102:103], v[100:101]
	v_fma_f64 v[102:103], v[233:234], s[52:53], v[134:135]
	v_add_f64 v[14:15], v[102:103], v[14:15]
	v_fma_f64 v[102:103], v[245:246], s[34:35], -v[164:165]
	s_delay_alu instid0(VALU_DEP_1) | instskip(SKIP_1) | instid1(VALU_DEP_1)
	v_add_f64 v[100:101], v[102:103], v[100:101]
	v_fma_f64 v[102:103], v[249:250], s[44:45], v[166:167]
	v_add_f64 v[14:15], v[102:103], v[14:15]
	v_fma_f64 v[102:103], v[24:25], s[30:31], -v[168:169]
	s_delay_alu instid0(VALU_DEP_1) | instskip(SKIP_1) | instid1(VALU_DEP_1)
	;; [unrolled: 5-line block ×5, first 2 shown]
	v_add_f64 v[100:101], v[102:103], v[100:101]
	v_fma_f64 v[102:103], v[62:63], s[46:47], v[227:228]
	v_add_f64 v[14:15], v[102:103], v[14:15]
	v_fma_f64 v[102:103], v[0:1], s[24:25], -v[237:238]
	v_mul_f64 v[237:238], v[251:252], s[40:41]
	s_delay_alu instid0(VALU_DEP_2) | instskip(NEXT) | instid1(VALU_DEP_4)
	v_add_f64 v[100:101], v[102:103], v[100:101]
	v_add_f64 v[102:103], v[132:133], v[14:15]
	v_mul_f64 v[14:15], v[2:3], s[48:49]
	s_delay_alu instid0(VALU_DEP_1) | instskip(SKIP_1) | instid1(VALU_DEP_2)
	v_fma_f64 v[132:133], v[229:230], s[26:27], v[14:15]
	v_fma_f64 v[14:15], v[229:230], s[26:27], -v[14:15]
	v_add_f64 v[12:13], v[132:133], v[12:13]
	v_mul_f64 v[132:133], v[4:5], s[26:27]
	s_delay_alu instid0(VALU_DEP_3) | instskip(NEXT) | instid1(VALU_DEP_2)
	v_add_f64 v[8:9], v[14:15], v[8:9]
	v_fma_f64 v[134:135], v[233:234], s[10:11], v[132:133]
	v_fma_f64 v[14:15], v[233:234], s[48:49], v[132:133]
	;; [unrolled: 1-line block ×3, first 2 shown]
	s_delay_alu instid0(VALU_DEP_3) | instskip(SKIP_1) | instid1(VALU_DEP_4)
	v_add_f64 v[10:11], v[134:135], v[10:11]
	v_mul_f64 v[134:135], v[16:17], s[46:47]
	v_add_f64 v[14:15], v[14:15], v[114:115]
	s_delay_alu instid0(VALU_DEP_2) | instskip(SKIP_3) | instid1(VALU_DEP_4)
	v_fma_f64 v[164:165], v[245:246], s[36:37], v[134:135]
	v_fma_f64 v[114:115], v[245:246], s[36:37], -v[134:135]
	v_mul_f64 v[134:135], v[16:17], s[14:15]
	v_mul_f64 v[16:17], v[16:17], s[2:3]
	v_add_f64 v[12:13], v[164:165], v[12:13]
	v_mul_f64 v[164:165], v[20:21], s[36:37]
	v_add_f64 v[8:9], v[114:115], v[8:9]
	s_delay_alu instid0(VALU_DEP_2) | instskip(SKIP_1) | instid1(VALU_DEP_2)
	v_fma_f64 v[166:167], v[249:250], s[42:43], v[164:165]
	v_fma_f64 v[114:115], v[249:250], s[46:47], v[164:165]
	v_add_f64 v[10:11], v[166:167], v[10:11]
	v_mul_f64 v[166:167], v[40:41], s[2:3]
	s_delay_alu instid0(VALU_DEP_3) | instskip(NEXT) | instid1(VALU_DEP_2)
	v_add_f64 v[14:15], v[114:115], v[14:15]
	v_fma_f64 v[168:169], v[24:25], s[22:23], v[166:167]
	v_fma_f64 v[114:115], v[24:25], s[22:23], -v[166:167]
	s_delay_alu instid0(VALU_DEP_2) | instskip(SKIP_1) | instid1(VALU_DEP_3)
	v_add_f64 v[12:13], v[168:169], v[12:13]
	v_mul_f64 v[168:169], v[42:43], s[22:23]
	v_add_f64 v[8:9], v[114:115], v[8:9]
	s_delay_alu instid0(VALU_DEP_2) | instskip(SKIP_2) | instid1(VALU_DEP_3)
	v_fma_f64 v[170:171], v[28:29], s[52:53], v[168:169]
	v_fma_f64 v[114:115], v[28:29], s[2:3], v[168:169]
	;; [unrolled: 1-line block ×3, first 2 shown]
	v_add_f64 v[10:11], v[170:171], v[10:11]
	v_mul_f64 v[170:171], v[46:47], s[38:39]
	s_delay_alu instid0(VALU_DEP_4) | instskip(NEXT) | instid1(VALU_DEP_2)
	v_add_f64 v[14:15], v[114:115], v[14:15]
	v_fma_f64 v[182:183], v[32:33], s[28:29], v[170:171]
	v_fma_f64 v[114:115], v[32:33], s[28:29], -v[170:171]
	s_delay_alu instid0(VALU_DEP_2) | instskip(SKIP_1) | instid1(VALU_DEP_3)
	v_add_f64 v[12:13], v[182:183], v[12:13]
	v_mul_f64 v[182:183], v[48:49], s[28:29]
	v_add_f64 v[8:9], v[114:115], v[8:9]
	s_delay_alu instid0(VALU_DEP_2) | instskip(SKIP_3) | instid1(VALU_DEP_4)
	v_fma_f64 v[218:219], v[36:37], s[14:15], v[182:183]
	v_fma_f64 v[114:115], v[36:37], s[38:39], v[182:183]
	v_mul_f64 v[182:183], v[20:21], s[28:29]
	v_mul_f64 v[20:21], v[20:21], s[22:23]
	v_add_f64 v[10:11], v[218:219], v[10:11]
	v_mul_f64 v[218:219], v[56:57], s[20:21]
	v_add_f64 v[14:15], v[114:115], v[14:15]
	s_delay_alu instid0(VALU_DEP_2) | instskip(SKIP_3) | instid1(VALU_DEP_4)
	v_fma_f64 v[220:221], v[44:45], s[34:35], v[218:219]
	v_fma_f64 v[114:115], v[44:45], s[34:35], -v[218:219]
	v_mul_f64 v[218:219], v[40:41], s[50:51]
	v_mul_f64 v[40:41], v[40:41], s[44:45]
	v_add_f64 v[12:13], v[220:221], v[12:13]
	v_mul_f64 v[220:221], v[64:65], s[34:35]
	v_add_f64 v[8:9], v[114:115], v[8:9]
	s_delay_alu instid0(VALU_DEP_2) | instskip(SKIP_3) | instid1(VALU_DEP_4)
	v_fma_f64 v[222:223], v[52:53], s[44:45], v[220:221]
	v_fma_f64 v[114:115], v[52:53], s[20:21], v[220:221]
	v_mul_f64 v[220:221], v[42:43], s[24:25]
	v_mul_f64 v[42:43], v[42:43], s[34:35]
	v_add_f64 v[10:11], v[222:223], v[10:11]
	v_mul_f64 v[222:223], v[18:19], s[0:1]
	v_add_f64 v[14:15], v[114:115], v[14:15]
	s_delay_alu instid0(VALU_DEP_2) | instskip(SKIP_3) | instid1(VALU_DEP_4)
	v_fma_f64 v[225:226], v[58:59], s[18:19], v[222:223]
	v_fma_f64 v[114:115], v[58:59], s[18:19], -v[222:223]
	v_mul_f64 v[222:223], v[46:47], s[46:47]
	v_mul_f64 v[46:47], v[46:47], s[8:9]
	v_add_f64 v[12:13], v[225:226], v[12:13]
	v_mul_f64 v[225:226], v[180:181], s[18:19]
	v_add_f64 v[8:9], v[114:115], v[8:9]
	s_delay_alu instid0(VALU_DEP_2) | instskip(SKIP_3) | instid1(VALU_DEP_4)
	v_fma_f64 v[114:115], v[62:63], s[0:1], v[225:226]
	v_fma_f64 v[227:228], v[62:63], s[54:55], v[225:226]
	v_mul_f64 v[225:226], v[48:49], s[36:37]
	v_mul_f64 v[48:49], v[48:49], s[24:25]
	v_add_f64 v[14:15], v[114:115], v[14:15]
	v_fma_f64 v[114:115], v[0:1], s[30:31], -v[237:238]
	v_add_f64 v[227:228], v[227:228], v[10:11]
	v_fma_f64 v[10:11], v[0:1], s[30:31], v[237:238]
	v_mul_f64 v[237:238], v[64:65], s[18:19]
	v_mul_f64 v[64:65], v[64:65], s[30:31]
	v_add_f64 v[166:167], v[132:133], v[14:15]
	v_add_f64 v[164:165], v[114:115], v[8:9]
	v_mul_f64 v[8:9], v[2:3], s[40:41]
	v_mul_f64 v[114:115], v[4:5], s[30:31]
	v_add_f64 v[10:11], v[10:11], v[12:13]
	v_fma_f64 v[12:13], v[22:23], s[16:17], v[239:240]
	v_mul_f64 v[239:240], v[18:19], s[44:45]
	v_mul_f64 v[18:19], v[18:19], s[10:11]
	v_fma_f64 v[14:15], v[229:230], s[30:31], v[8:9]
	v_fma_f64 v[132:133], v[233:234], s[16:17], v[114:115]
	v_fma_f64 v[8:9], v[229:230], s[30:31], -v[8:9]
	v_add_f64 v[12:13], v[12:13], v[227:228]
	v_mul_f64 v[227:228], v[56:57], s[0:1]
	v_fma_f64 v[114:115], v[233:234], s[40:41], v[114:115]
	v_mul_f64 v[56:57], v[56:57], s[40:41]
	v_add_f64 v[14:15], v[14:15], v[138:139]
	v_add_f64 v[132:133], v[132:133], v[136:137]
	v_mul_f64 v[136:137], v[180:181], s[34:35]
	s_delay_alu instid0(VALU_DEP_3) | instskip(SKIP_1) | instid1(VALU_DEP_3)
	v_add_f64 v[14:15], v[168:169], v[14:15]
	v_fma_f64 v[168:169], v[249:250], s[38:39], v[182:183]
	v_fma_f64 v[138:139], v[62:63], s[20:21], v[136:137]
	s_delay_alu instid0(VALU_DEP_2) | instskip(SKIP_1) | instid1(VALU_DEP_1)
	v_add_f64 v[132:133], v[168:169], v[132:133]
	v_fma_f64 v[168:169], v[24:25], s[24:25], v[218:219]
	v_add_f64 v[14:15], v[168:169], v[14:15]
	v_fma_f64 v[168:169], v[28:29], s[8:9], v[220:221]
	s_delay_alu instid0(VALU_DEP_1) | instskip(SKIP_1) | instid1(VALU_DEP_1)
	v_add_f64 v[132:133], v[168:169], v[132:133]
	v_fma_f64 v[168:169], v[32:33], s[36:37], v[222:223]
	v_add_f64 v[14:15], v[168:169], v[14:15]
	v_fma_f64 v[168:169], v[36:37], s[42:43], v[225:226]
	s_delay_alu instid0(VALU_DEP_1) | instskip(SKIP_1) | instid1(VALU_DEP_1)
	v_add_f64 v[132:133], v[168:169], v[132:133]
	v_fma_f64 v[168:169], v[44:45], s[18:19], v[227:228]
	v_add_f64 v[14:15], v[168:169], v[14:15]
	v_fma_f64 v[168:169], v[52:53], s[54:55], v[237:238]
	s_delay_alu instid0(VALU_DEP_1) | instskip(SKIP_1) | instid1(VALU_DEP_2)
	v_add_f64 v[132:133], v[168:169], v[132:133]
	v_fma_f64 v[168:169], v[58:59], s[34:35], v[239:240]
	v_add_f64 v[132:133], v[138:139], v[132:133]
	v_mul_f64 v[138:139], v[251:252], s[10:11]
	s_delay_alu instid0(VALU_DEP_3) | instskip(NEXT) | instid1(VALU_DEP_2)
	v_add_f64 v[14:15], v[168:169], v[14:15]
	v_fma_f64 v[168:169], v[0:1], s[26:27], v[138:139]
	s_delay_alu instid0(VALU_DEP_1) | instskip(SKIP_1) | instid1(VALU_DEP_1)
	v_add_f64 v[168:169], v[168:169], v[14:15]
	v_mul_f64 v[14:15], v[253:254], s[26:27]
	v_fma_f64 v[170:171], v[22:23], s[48:49], v[14:15]
	v_fma_f64 v[14:15], v[22:23], s[10:11], v[14:15]
	s_delay_alu instid0(VALU_DEP_2)
	v_add_f64 v[170:171], v[170:171], v[132:133]
	scratch_load_b64 v[132:133], off, off offset:420 ; 8-byte Folded Reload
	s_waitcnt vmcnt(0)
	v_add_f64 v[8:9], v[8:9], v[132:133]
	scratch_load_b64 v[132:133], off, off offset:412 ; 8-byte Folded Reload
	s_waitcnt vmcnt(0)
	v_add_f64 v[114:115], v[114:115], v[132:133]
	v_fma_f64 v[132:133], v[245:246], s[28:29], -v[134:135]
	v_mul_f64 v[134:135], v[253:254], s[28:29]
	s_delay_alu instid0(VALU_DEP_2) | instskip(SKIP_1) | instid1(VALU_DEP_1)
	v_add_f64 v[8:9], v[132:133], v[8:9]
	v_fma_f64 v[132:133], v[249:250], s[14:15], v[182:183]
	v_add_f64 v[114:115], v[132:133], v[114:115]
	v_fma_f64 v[132:133], v[24:25], s[24:25], -v[218:219]
	s_delay_alu instid0(VALU_DEP_1) | instskip(SKIP_1) | instid1(VALU_DEP_1)
	v_add_f64 v[8:9], v[132:133], v[8:9]
	v_fma_f64 v[132:133], v[28:29], s[50:51], v[220:221]
	v_add_f64 v[114:115], v[132:133], v[114:115]
	v_fma_f64 v[132:133], v[32:33], s[36:37], -v[222:223]
	s_delay_alu instid0(VALU_DEP_1) | instskip(SKIP_1) | instid1(VALU_DEP_1)
	;; [unrolled: 5-line block ×4, first 2 shown]
	v_add_f64 v[8:9], v[132:133], v[8:9]
	v_fma_f64 v[132:133], v[62:63], s[44:45], v[136:137]
	v_add_f64 v[114:115], v[132:133], v[114:115]
	v_fma_f64 v[132:133], v[0:1], s[26:27], -v[138:139]
	s_delay_alu instid0(VALU_DEP_2)
	v_add_f64 v[220:221], v[14:15], v[114:115]
	s_clause 0x1
	scratch_load_b64 v[14:15], off, off offset:404
	scratch_load_b64 v[114:115], off, off offset:396
	v_add_f64 v[218:219], v[132:133], v[8:9]
	v_mul_f64 v[8:9], v[2:3], s[42:43]
	s_delay_alu instid0(VALU_DEP_1) | instskip(SKIP_2) | instid1(VALU_DEP_2)
	v_fma_f64 v[2:3], v[229:230], s[36:37], v[8:9]
	v_fma_f64 v[8:9], v[229:230], s[36:37], -v[8:9]
	s_waitcnt vmcnt(1)
	v_add_f64 v[2:3], v[2:3], v[14:15]
	v_mul_f64 v[14:15], v[4:5], s[36:37]
	s_delay_alu instid0(VALU_DEP_1) | instskip(SKIP_2) | instid1(VALU_DEP_2)
	v_fma_f64 v[4:5], v[233:234], s[46:47], v[14:15]
	v_fma_f64 v[14:15], v[233:234], s[42:43], v[14:15]
	s_waitcnt vmcnt(0)
	v_add_f64 v[4:5], v[4:5], v[114:115]
	v_fma_f64 v[114:115], v[245:246], s[22:23], v[16:17]
	v_fma_f64 v[16:17], v[245:246], s[22:23], -v[16:17]
	s_delay_alu instid0(VALU_DEP_2) | instskip(SKIP_1) | instid1(VALU_DEP_1)
	v_add_f64 v[2:3], v[114:115], v[2:3]
	v_fma_f64 v[114:115], v[249:250], s[52:53], v[20:21]
	v_add_f64 v[4:5], v[114:115], v[4:5]
	v_fma_f64 v[114:115], v[24:25], s[34:35], v[40:41]
	s_delay_alu instid0(VALU_DEP_1) | instskip(SKIP_1) | instid1(VALU_DEP_1)
	v_add_f64 v[2:3], v[114:115], v[2:3]
	v_fma_f64 v[114:115], v[28:29], s[20:21], v[42:43]
	v_add_f64 v[4:5], v[114:115], v[4:5]
	v_fma_f64 v[114:115], v[32:33], s[24:25], v[46:47]
	s_delay_alu instid0(VALU_DEP_1) | instskip(SKIP_1) | instid1(VALU_DEP_1)
	;; [unrolled: 5-line block ×4, first 2 shown]
	v_add_f64 v[2:3], v[114:115], v[2:3]
	v_mul_f64 v[114:115], v[180:181], s[26:27]
	v_fma_f64 v[132:133], v[62:63], s[48:49], v[114:115]
	s_delay_alu instid0(VALU_DEP_1) | instskip(SKIP_1) | instid1(VALU_DEP_1)
	v_add_f64 v[4:5], v[132:133], v[4:5]
	v_mul_f64 v[132:133], v[251:252], s[38:39]
	v_fma_f64 v[136:137], v[0:1], s[28:29], v[132:133]
	s_delay_alu instid0(VALU_DEP_1) | instskip(SKIP_1) | instid1(VALU_DEP_1)
	v_add_f64 v[2:3], v[136:137], v[2:3]
	v_fma_f64 v[136:137], v[22:23], s[14:15], v[134:135]
	v_add_f64 v[4:5], v[136:137], v[4:5]
	scratch_load_b64 v[136:137], off, off offset:388 ; 8-byte Folded Reload
	s_waitcnt vmcnt(0)
	v_add_f64 v[8:9], v[8:9], v[136:137]
	scratch_load_b64 v[136:137], off, off offset:380 ; 8-byte Folded Reload
	v_add_f64 v[8:9], v[16:17], v[8:9]
	v_fma_f64 v[16:17], v[249:250], s[2:3], v[20:21]
	s_waitcnt vmcnt(0)
	v_add_f64 v[14:15], v[14:15], v[136:137]
	s_delay_alu instid0(VALU_DEP_1) | instskip(SKIP_4) | instid1(VALU_DEP_4)
	v_add_f64 v[14:15], v[16:17], v[14:15]
	v_fma_f64 v[16:17], v[24:25], s[34:35], -v[40:41]
	v_fma_f64 v[40:41], v[233:234], s[20:21], v[235:236]
	v_fma_f64 v[24:25], v[24:25], s[28:29], -v[26:27]
	v_fma_f64 v[26:27], v[28:29], s[14:15], v[30:31]
	v_add_f64 v[8:9], v[16:17], v[8:9]
	v_fma_f64 v[16:17], v[28:29], s[44:45], v[42:43]
	v_fma_f64 v[42:43], v[245:246], s[30:31], -v[247:248]
	v_fma_f64 v[28:29], v[36:37], s[10:11], v[38:39]
	s_delay_alu instid0(VALU_DEP_3) | instskip(SKIP_2) | instid1(VALU_DEP_2)
	v_add_f64 v[14:15], v[16:17], v[14:15]
	v_fma_f64 v[16:17], v[32:33], s[24:25], -v[46:47]
	v_fma_f64 v[46:47], v[249:250], s[16:17], v[243:244]
	v_add_f64 v[8:9], v[16:17], v[8:9]
	v_fma_f64 v[16:17], v[36:37], s[8:9], v[48:49]
	s_delay_alu instid0(VALU_DEP_1) | instskip(SKIP_1) | instid1(VALU_DEP_1)
	v_add_f64 v[14:15], v[16:17], v[14:15]
	v_fma_f64 v[16:17], v[44:45], s[30:31], -v[56:57]
	v_add_f64 v[8:9], v[16:17], v[8:9]
	v_fma_f64 v[16:17], v[52:53], s[40:41], v[64:65]
	s_delay_alu instid0(VALU_DEP_1) | instskip(SKIP_2) | instid1(VALU_DEP_2)
	v_add_f64 v[14:15], v[16:17], v[14:15]
	v_fma_f64 v[16:17], v[58:59], s[26:27], -v[18:19]
	v_fma_f64 v[18:19], v[22:23], s[38:39], v[134:135]
	v_add_f64 v[8:9], v[16:17], v[8:9]
	v_fma_f64 v[16:17], v[62:63], s[10:11], v[114:115]
	s_delay_alu instid0(VALU_DEP_1) | instskip(SKIP_3) | instid1(VALU_DEP_4)
	v_add_f64 v[16:17], v[16:17], v[14:15]
	v_fma_f64 v[14:15], v[0:1], s[28:29], -v[132:133]
	v_fma_f64 v[0:1], v[0:1], s[18:19], -v[6:7]
	v_fma_f64 v[6:7], v[22:23], s[0:1], v[241:242]
	v_add_f64 v[16:17], v[18:19], v[16:17]
	s_delay_alu instid0(VALU_DEP_4)
	v_add_f64 v[14:15], v[14:15], v[8:9]
	s_clause 0x2
	scratch_load_b64 v[8:9], off, off offset:364
	scratch_load_b64 v[18:19], off, off offset:372
	;; [unrolled: 1-line block ×3, first 2 shown]
	s_waitcnt vmcnt(2)
	v_add_f64 v[8:9], v[8:9], v[184:185]
	s_waitcnt vmcnt(1)
	v_add_f64 v[18:19], v[18:19], v[186:187]
	s_delay_alu instid0(VALU_DEP_2) | instskip(NEXT) | instid1(VALU_DEP_2)
	v_add_f64 v[8:9], v[8:9], v[188:189]
	v_add_f64 v[18:19], v[18:19], v[190:191]
	s_delay_alu instid0(VALU_DEP_2) | instskip(NEXT) | instid1(VALU_DEP_2)
	v_add_f64 v[8:9], v[8:9], v[192:193]
	;; [unrolled: 3-line block ×13, first 2 shown]
	v_add_f64 v[20:21], v[18:19], v[120:121]
	s_delay_alu instid0(VALU_DEP_2) | instskip(SKIP_1) | instid1(VALU_DEP_3)
	v_add_f64 v[18:19], v[8:9], v[112:113]
	v_fma_f64 v[8:9], v[229:230], s[34:35], -v[231:232]
	v_add_f64 v[20:21], v[20:21], v[122:123]
	s_waitcnt vmcnt(0)
	s_delay_alu instid0(VALU_DEP_2)
	v_add_f64 v[8:9], v[8:9], v[48:49]
	scratch_load_b64 v[48:49], off, off offset:316 ; 8-byte Folded Reload
	s_waitcnt vmcnt(0)
	s_waitcnt_vscnt null, 0x0
	s_barrier
	buffer_gl0_inv
	v_add_f64 v[8:9], v[42:43], v[8:9]
	s_delay_alu instid0(VALU_DEP_1) | instskip(SKIP_1) | instid1(VALU_DEP_1)
	v_add_f64 v[8:9], v[24:25], v[8:9]
	v_add_f64 v[40:41], v[40:41], v[48:49]
	;; [unrolled: 1-line block ×3, first 2 shown]
	s_delay_alu instid0(VALU_DEP_1) | instskip(SKIP_1) | instid1(VALU_DEP_2)
	v_add_f64 v[24:25], v[26:27], v[40:41]
	v_fma_f64 v[26:27], v[32:33], s[26:27], -v[34:35]
	v_add_f64 v[24:25], v[28:29], v[24:25]
	s_delay_alu instid0(VALU_DEP_2) | instskip(SKIP_2) | instid1(VALU_DEP_2)
	v_add_f64 v[8:9], v[26:27], v[8:9]
	v_fma_f64 v[26:27], v[44:45], s[24:25], -v[50:51]
	v_fma_f64 v[28:29], v[52:53], s[8:9], v[54:55]
	v_add_f64 v[8:9], v[26:27], v[8:9]
	s_delay_alu instid0(VALU_DEP_2) | instskip(SKIP_2) | instid1(VALU_DEP_2)
	v_add_f64 v[24:25], v[28:29], v[24:25]
	v_fma_f64 v[26:27], v[58:59], s[22:23], -v[60:61]
	v_fma_f64 v[28:29], v[62:63], s[2:3], v[66:67]
	v_add_f64 v[8:9], v[26:27], v[8:9]
	s_delay_alu instid0(VALU_DEP_2) | instskip(NEXT) | instid1(VALU_DEP_2)
	v_add_f64 v[24:25], v[28:29], v[24:25]
	v_add_f64 v[88:89], v[0:1], v[8:9]
	s_delay_alu instid0(VALU_DEP_2)
	v_add_f64 v[90:91], v[6:7], v[24:25]
	ds_store_b128 v224, v[76:79] offset:544
	ds_store_b128 v224, v[84:87] offset:816
	;; [unrolled: 1-line block ×13, first 2 shown]
	ds_store_b128 v224, v[18:21]
	ds_store_b128 v224, v[80:83] offset:3808
	ds_store_b128 v224, v[68:71] offset:4080
	ds_store_b128 v224, v[88:91] offset:4352
	s_waitcnt lgkmcnt(0)
	s_barrier
	buffer_gl0_inv
	ds_load_b128 v[72:75], v255
	ds_load_b128 v[76:79], v255 offset:816
	ds_load_b128 v[96:99], v255 offset:9248
	;; [unrolled: 1-line block ×14, first 2 shown]
	s_and_saveexec_b32 s0, vcc_lo
	s_cbranch_execz .LBB0_7
; %bb.6:
	ds_load_b128 v[68:71], v255 offset:4080
	ds_load_b128 v[88:91], v255 offset:8704
	;; [unrolled: 1-line block ×3, first 2 shown]
	s_waitcnt lgkmcnt(0)
	scratch_store_b128 off, v[0:3], off offset:4 ; 16-byte Folded Spill
.LBB0_7:
	s_or_b32 exec_lo, exec_lo, s0
	s_clause 0x1
	scratch_load_b128 v[40:43], off, off offset:332
	scratch_load_b128 v[44:47], off, off offset:348
	s_waitcnt lgkmcnt(10)
	v_mul_f64 v[8:9], v[142:143], v[106:107]
	v_mul_f64 v[10:11], v[146:147], v[102:103]
	;; [unrolled: 1-line block ×4, first 2 shown]
	s_waitcnt lgkmcnt(9)
	v_mul_f64 v[16:17], v[150:151], v[110:111]
	s_waitcnt lgkmcnt(6)
	v_mul_f64 v[18:19], v[154:155], v[114:115]
	v_mul_f64 v[20:21], v[150:151], v[108:109]
	;; [unrolled: 1-line block ×3, first 2 shown]
	s_waitcnt lgkmcnt(2)
	v_mul_f64 v[24:25], v[158:159], v[130:131]
	v_mul_f64 v[26:27], v[162:163], v[118:119]
	;; [unrolled: 1-line block ×4, first 2 shown]
	s_waitcnt lgkmcnt(1)
	v_mul_f64 v[32:33], v[174:175], v[122:123]
	s_waitcnt lgkmcnt(0)
	v_mul_f64 v[34:35], v[178:179], v[126:127]
	v_mul_f64 v[36:37], v[174:175], v[120:121]
	;; [unrolled: 1-line block ×3, first 2 shown]
	s_mov_b32 s0, 0xe8584caa
	s_mov_b32 s1, 0xbfebb67a
	;; [unrolled: 1-line block ×4, first 2 shown]
	v_fma_f64 v[8:9], v[140:141], v[104:105], v[8:9]
	v_fma_f64 v[10:11], v[144:145], v[100:101], v[10:11]
	v_fma_f64 v[12:13], v[140:141], v[106:107], -v[12:13]
	v_fma_f64 v[14:15], v[144:145], v[102:103], -v[14:15]
	v_fma_f64 v[16:17], v[148:149], v[108:109], v[16:17]
	v_fma_f64 v[18:19], v[152:153], v[112:113], v[18:19]
	v_fma_f64 v[20:21], v[148:149], v[110:111], -v[20:21]
	v_fma_f64 v[22:23], v[152:153], v[114:115], -v[22:23]
	;; [unrolled: 4-line block ×4, first 2 shown]
	v_add_f64 v[64:65], v[76:77], v[8:9]
	v_add_f64 v[66:67], v[78:79], v[12:13]
	;; [unrolled: 1-line block ×12, first 2 shown]
	v_fma_f64 v[48:49], v[48:49], -0.5, v[80:81]
	v_fma_f64 v[50:51], v[50:51], -0.5, v[82:83]
	;; [unrolled: 1-line block ×3, first 2 shown]
	v_add_f64 v[84:85], v[24:25], -v[26:27]
	v_fma_f64 v[54:55], v[54:55], -0.5, v[86:87]
	v_add_f64 v[86:87], v[36:37], -v[38:39]
	v_fma_f64 v[56:57], v[56:57], -0.5, v[92:93]
	;; [unrolled: 2-line block ×3, first 2 shown]
	s_waitcnt vmcnt(1)
	v_mul_f64 v[0:1], v[42:43], v[186:187]
	s_waitcnt vmcnt(0)
	v_mul_f64 v[2:3], v[46:47], v[98:99]
	v_mul_f64 v[4:5], v[42:43], v[184:185]
	;; [unrolled: 1-line block ×3, first 2 shown]
	v_add_f64 v[46:47], v[12:13], v[14:15]
	v_fma_f64 v[0:1], v[40:41], v[184:185], v[0:1]
	v_fma_f64 v[2:3], v[44:45], v[96:97], v[2:3]
	v_fma_f64 v[4:5], v[40:41], v[186:187], -v[4:5]
	v_fma_f64 v[6:7], v[44:45], v[98:99], -v[6:7]
	v_add_f64 v[44:45], v[8:9], v[10:11]
	v_add_f64 v[96:97], v[80:81], v[16:17]
	;; [unrolled: 1-line block ×3, first 2 shown]
	v_fma_f64 v[46:47], v[46:47], -0.5, v[78:79]
	v_add_f64 v[78:79], v[20:21], -v[22:23]
	v_add_f64 v[80:81], v[16:17], -v[18:19]
	;; [unrolled: 1-line block ×3, first 2 shown]
	v_add_f64 v[16:17], v[104:105], v[34:35]
	v_add_f64 v[60:61], v[72:73], v[0:1]
	;; [unrolled: 1-line block ×4, first 2 shown]
	v_add_f64 v[62:63], v[4:5], -v[6:7]
	v_add_f64 v[4:5], v[74:75], v[4:5]
	v_fma_f64 v[44:45], v[44:45], -0.5, v[76:77]
	v_add_f64 v[76:77], v[8:9], -v[10:11]
	v_add_f64 v[8:9], v[96:97], v[18:19]
	v_add_f64 v[18:19], v[106:107], v[38:39]
	v_fma_f64 v[36:37], v[78:79], s[0:1], v[48:49]
	v_fma_f64 v[38:39], v[80:81], s[2:3], v[50:51]
	v_fma_f64 v[40:41], v[40:41], -0.5, v[72:73]
	v_add_f64 v[72:73], v[0:1], -v[2:3]
	v_fma_f64 v[42:43], v[42:43], -0.5, v[74:75]
	v_add_f64 v[74:75], v[12:13], -v[14:15]
	v_add_f64 v[0:1], v[60:61], v[2:3]
	v_add_f64 v[2:3], v[4:5], v[6:7]
	;; [unrolled: 1-line block ×7, first 2 shown]
	v_fma_f64 v[34:35], v[76:77], s[0:1], v[46:47]
	v_fma_f64 v[30:31], v[76:77], s[2:3], v[46:47]
	;; [unrolled: 1-line block ×18, first 2 shown]
	ds_store_b128 v255, v[0:3]
	ds_store_b128 v255, v[4:7] offset:816
	ds_store_b128 v255, v[8:11] offset:1632
	;; [unrolled: 1-line block ×14, first 2 shown]
	s_and_saveexec_b32 s8, vcc_lo
	s_cbranch_execz .LBB0_9
; %bb.8:
	s_clause 0x2
	scratch_load_b128 v[8:11], off, off offset:428
	scratch_load_b128 v[12:15], off, off offset:444
	scratch_load_b128 v[16:19], off, off offset:4
	s_waitcnt vmcnt(2)
	v_mul_f64 v[0:1], v[10:11], v[88:89]
	s_waitcnt vmcnt(0)
	v_mul_f64 v[2:3], v[14:15], v[16:17]
	v_mul_f64 v[4:5], v[10:11], v[90:91]
	v_mul_f64 v[6:7], v[14:15], v[18:19]
	s_delay_alu instid0(VALU_DEP_4) | instskip(NEXT) | instid1(VALU_DEP_4)
	v_fma_f64 v[0:1], v[8:9], v[90:91], -v[0:1]
	v_fma_f64 v[2:3], v[12:13], v[18:19], -v[2:3]
	s_delay_alu instid0(VALU_DEP_4) | instskip(NEXT) | instid1(VALU_DEP_4)
	v_fma_f64 v[4:5], v[8:9], v[88:89], v[4:5]
	v_fma_f64 v[6:7], v[12:13], v[16:17], v[6:7]
	s_delay_alu instid0(VALU_DEP_4) | instskip(NEXT) | instid1(VALU_DEP_4)
	v_add_f64 v[14:15], v[70:71], v[0:1]
	v_add_f64 v[8:9], v[0:1], v[2:3]
	v_add_f64 v[16:17], v[0:1], -v[2:3]
	s_delay_alu instid0(VALU_DEP_4)
	v_add_f64 v[10:11], v[4:5], v[6:7]
	v_add_f64 v[12:13], v[4:5], -v[6:7]
	v_add_f64 v[4:5], v[68:69], v[4:5]
	v_add_f64 v[2:3], v[14:15], v[2:3]
	v_fma_f64 v[8:9], v[8:9], -0.5, v[70:71]
	v_fma_f64 v[18:19], v[10:11], -0.5, v[68:69]
	s_delay_alu instid0(VALU_DEP_4) | instskip(NEXT) | instid1(VALU_DEP_3)
	v_add_f64 v[0:1], v[4:5], v[6:7]
	v_fma_f64 v[6:7], v[12:13], s[0:1], v[8:9]
	v_fma_f64 v[10:11], v[12:13], s[2:3], v[8:9]
	s_delay_alu instid0(VALU_DEP_4)
	v_fma_f64 v[8:9], v[16:17], s[0:1], v[18:19]
	v_fma_f64 v[4:5], v[16:17], s[2:3], v[18:19]
	ds_store_b128 v255, v[0:3] offset:4080
	ds_store_b128 v255, v[8:11] offset:8704
	;; [unrolled: 1-line block ×3, first 2 shown]
.LBB0_9:
	s_or_b32 exec_lo, exec_lo, s8
	s_waitcnt lgkmcnt(0)
	s_waitcnt_vscnt null, 0x0
	s_barrier
	buffer_gl0_inv
	ds_load_b128 v[0:3], v255
	ds_load_b128 v[4:7], v255 offset:816
	ds_load_b128 v[8:11], v255 offset:1632
	;; [unrolled: 1-line block ×5, first 2 shown]
	s_clause 0x2
	scratch_load_b128 v[110:113], off, off offset:28
	scratch_load_b64 v[24:25], off, off offset:20
	scratch_load_b32 v99, off, off
	s_mov_b32 s0, 0x8b5e3104
	s_mov_b32 s1, 0x3f52e5b8
	s_mul_i32 s3, s5, 0x330
	s_mul_i32 s2, s4, 0x330
	ds_load_b128 v[28:31], v255 offset:5712
	s_waitcnt vmcnt(2) lgkmcnt(6)
	v_mul_f64 v[72:73], v[112:113], v[2:3]
	v_mul_f64 v[74:75], v[112:113], v[0:1]
	scratch_load_b128 v[112:115], off, off offset:44 ; 16-byte Folded Reload
	s_waitcnt vmcnt(2)
	v_mov_b32_e32 v98, v24
	ds_load_b128 v[24:27], v255 offset:4896
	s_waitcnt vmcnt(1)
	v_mad_u64_u32 v[70:71], null, s4, v99, 0
	v_mad_u64_u32 v[68:69], null, s6, v98, 0
	s_mul_hi_u32 s6, s4, 0x330
	s_delay_alu instid0(SALU_CYCLE_1) | instskip(NEXT) | instid1(VALU_DEP_1)
	s_add_i32 s6, s6, s3
	v_mad_u64_u32 v[96:97], null, s7, v98, v[69:70]
	s_delay_alu instid0(VALU_DEP_1) | instskip(NEXT) | instid1(VALU_DEP_1)
	v_mov_b32_e32 v69, v96
	v_lshlrev_b64 v[68:69], 4, v[68:69]
	v_mad_u64_u32 v[97:98], null, s5, v99, v[71:72]
	v_fma_f64 v[0:1], v[110:111], v[0:1], v[72:73]
	v_fma_f64 v[2:3], v[110:111], v[2:3], -v[74:75]
	s_delay_alu instid0(VALU_DEP_4) | instskip(SKIP_2) | instid1(VALU_DEP_1)
	v_add_co_u32 v110, vcc_lo, s12, v68
	v_add_co_ci_u32_e32 v111, vcc_lo, s13, v69, vcc_lo
	v_mov_b32_e32 v71, v97
	v_lshlrev_b64 v[70:71], 4, v[70:71]
	s_delay_alu instid0(VALU_DEP_1) | instskip(NEXT) | instid1(VALU_DEP_2)
	v_add_co_u32 v70, vcc_lo, v110, v70
	v_add_co_ci_u32_e32 v71, vcc_lo, v111, v71, vcc_lo
	v_mul_f64 v[0:1], v[0:1], s[0:1]
	v_mul_f64 v[2:3], v[2:3], s[0:1]
	s_waitcnt vmcnt(0) lgkmcnt(6)
	v_mul_f64 v[76:77], v[114:115], v[6:7]
	v_mul_f64 v[78:79], v[114:115], v[4:5]
	scratch_load_b128 v[114:117], off, off offset:60 ; 16-byte Folded Reload
	v_fma_f64 v[4:5], v[112:113], v[4:5], v[76:77]
	v_fma_f64 v[6:7], v[112:113], v[6:7], -v[78:79]
	v_add_co_u32 v112, vcc_lo, v70, s2
	v_add_co_ci_u32_e32 v113, vcc_lo, s6, v71, vcc_lo
	s_delay_alu instid0(VALU_DEP_4) | instskip(NEXT) | instid1(VALU_DEP_4)
	v_mul_f64 v[4:5], v[4:5], s[0:1]
	v_mul_f64 v[6:7], v[6:7], s[0:1]
	s_waitcnt vmcnt(0) lgkmcnt(5)
	v_mul_f64 v[80:81], v[116:117], v[10:11]
	v_mul_f64 v[82:83], v[116:117], v[8:9]
	scratch_load_b128 v[116:119], off, off offset:76 ; 16-byte Folded Reload
	v_fma_f64 v[8:9], v[114:115], v[8:9], v[80:81]
	v_fma_f64 v[10:11], v[114:115], v[10:11], -v[82:83]
	s_delay_alu instid0(VALU_DEP_2) | instskip(NEXT) | instid1(VALU_DEP_2)
	v_mul_f64 v[8:9], v[8:9], s[0:1]
	v_mul_f64 v[10:11], v[10:11], s[0:1]
	s_waitcnt vmcnt(0) lgkmcnt(4)
	v_mul_f64 v[84:85], v[118:119], v[14:15]
	v_mul_f64 v[86:87], v[118:119], v[12:13]
	scratch_load_b128 v[118:121], off, off offset:92 ; 16-byte Folded Reload
	v_fma_f64 v[12:13], v[116:117], v[12:13], v[84:85]
	v_fma_f64 v[14:15], v[116:117], v[14:15], -v[86:87]
	v_add_co_u32 v116, vcc_lo, v112, s2
	v_add_co_ci_u32_e32 v117, vcc_lo, s6, v113, vcc_lo
	s_delay_alu instid0(VALU_DEP_4) | instskip(NEXT) | instid1(VALU_DEP_4)
	v_mul_f64 v[12:13], v[12:13], s[0:1]
	v_mul_f64 v[14:15], v[14:15], s[0:1]
	s_waitcnt vmcnt(0) lgkmcnt(3)
	v_mul_f64 v[88:89], v[120:121], v[18:19]
	v_mul_f64 v[90:91], v[120:121], v[16:17]
	scratch_load_b128 v[120:123], off, off offset:108 ; 16-byte Folded Reload
	ds_load_b128 v[32:35], v255 offset:6528
	ds_load_b128 v[36:39], v255 offset:7344
	ds_load_b128 v[40:43], v255 offset:8160
	ds_load_b128 v[44:47], v255 offset:8976
	ds_load_b128 v[48:51], v255 offset:9792
	ds_load_b128 v[52:55], v255 offset:10608
	ds_load_b128 v[56:59], v255 offset:11424
	ds_load_b128 v[60:63], v255 offset:12240
	ds_load_b128 v[64:67], v255 offset:13056
	v_fma_f64 v[16:17], v[118:119], v[16:17], v[88:89]
	v_fma_f64 v[18:19], v[118:119], v[18:19], -v[90:91]
	s_delay_alu instid0(VALU_DEP_2) | instskip(NEXT) | instid1(VALU_DEP_2)
	v_mul_f64 v[16:17], v[16:17], s[0:1]
	v_mul_f64 v[18:19], v[18:19], s[0:1]
	s_waitcnt vmcnt(0) lgkmcnt(11)
	v_mul_f64 v[92:93], v[122:123], v[22:23]
	v_mul_f64 v[94:95], v[122:123], v[20:21]
	scratch_load_b128 v[122:125], off, off offset:124 ; 16-byte Folded Reload
	v_fma_f64 v[20:21], v[120:121], v[20:21], v[92:93]
	v_fma_f64 v[22:23], v[120:121], v[22:23], -v[94:95]
	scratch_load_b128 v[118:121], off, off offset:172 ; 16-byte Folded Reload
	v_mul_f64 v[20:21], v[20:21], s[0:1]
	v_mul_f64 v[22:23], v[22:23], s[0:1]
	s_waitcnt vmcnt(1) lgkmcnt(9)
	v_mul_f64 v[98:99], v[124:125], v[26:27]
	v_mul_f64 v[100:101], v[124:125], v[24:25]
	scratch_load_b128 v[124:127], off, off offset:140 ; 16-byte Folded Reload
	s_waitcnt vmcnt(1) lgkmcnt(7)
	v_mul_f64 v[72:73], v[120:121], v[38:39]
	v_mul_f64 v[74:75], v[120:121], v[36:37]
	v_fma_f64 v[24:25], v[122:123], v[24:25], v[98:99]
	v_fma_f64 v[26:27], v[122:123], v[26:27], -v[100:101]
	v_add_co_u32 v98, vcc_lo, v116, s2
	v_add_co_ci_u32_e32 v99, vcc_lo, s6, v117, vcc_lo
	s_delay_alu instid0(VALU_DEP_2) | instskip(NEXT) | instid1(VALU_DEP_2)
	v_add_co_u32 v100, vcc_lo, v98, s2
	v_add_co_ci_u32_e32 v101, vcc_lo, s6, v99, vcc_lo
	v_fma_f64 v[36:37], v[118:119], v[36:37], v[72:73]
	s_delay_alu instid0(VALU_DEP_3) | instskip(NEXT) | instid1(VALU_DEP_3)
	v_add_co_u32 v72, vcc_lo, v100, s2
	v_add_co_ci_u32_e32 v73, vcc_lo, s6, v101, vcc_lo
	v_fma_f64 v[38:39], v[118:119], v[38:39], -v[74:75]
	s_waitcnt vmcnt(0)
	v_mul_f64 v[102:103], v[126:127], v[30:31]
	v_mul_f64 v[104:105], v[126:127], v[28:29]
	scratch_load_b128 v[126:129], off, off offset:156 ; 16-byte Folded Reload
	v_fma_f64 v[28:29], v[124:125], v[28:29], v[102:103]
	v_fma_f64 v[30:31], v[124:125], v[30:31], -v[104:105]
	s_waitcnt vmcnt(0)
	v_mul_f64 v[106:107], v[128:129], v[34:35]
	v_mul_f64 v[108:109], v[128:129], v[32:33]
	scratch_load_b128 v[128:131], off, off offset:188 ; 16-byte Folded Reload
	v_fma_f64 v[32:33], v[126:127], v[32:33], v[106:107]
	v_fma_f64 v[34:35], v[126:127], v[34:35], -v[108:109]
	s_waitcnt vmcnt(0) lgkmcnt(6)
	v_mul_f64 v[76:77], v[130:131], v[42:43]
	v_mul_f64 v[78:79], v[130:131], v[40:41]
	scratch_load_b128 v[130:133], off, off offset:204 ; 16-byte Folded Reload
	v_fma_f64 v[40:41], v[128:129], v[40:41], v[76:77]
	v_fma_f64 v[42:43], v[128:129], v[42:43], -v[78:79]
	s_waitcnt vmcnt(0) lgkmcnt(5)
	v_mul_f64 v[80:81], v[132:133], v[46:47]
	v_mul_f64 v[82:83], v[132:133], v[44:45]
	scratch_load_b128 v[132:135], off, off offset:220 ; 16-byte Folded Reload
	s_waitcnt vmcnt(0) lgkmcnt(4)
	v_mul_f64 v[84:85], v[134:135], v[50:51]
	v_mul_f64 v[86:87], v[134:135], v[48:49]
	scratch_load_b128 v[134:137], off, off offset:236 ; 16-byte Folded Reload
	;; [unrolled: 4-line block ×5, first 2 shown]
	s_clause 0x4
	global_store_b128 v[70:71], v[0:3], off
	global_store_b128 v[112:113], v[4:7], off
	;; [unrolled: 1-line block ×6, first 2 shown]
	v_fma_f64 v[20:21], v[130:131], v[44:45], v[80:81]
	v_fma_f64 v[22:23], v[130:131], v[46:47], -v[82:83]
	v_fma_f64 v[44:45], v[132:133], v[48:49], v[84:85]
	v_fma_f64 v[46:47], v[132:133], v[50:51], -v[86:87]
	;; [unrolled: 2-line block ×4, first 2 shown]
	v_mul_f64 v[0:1], v[24:25], s[0:1]
	v_mul_f64 v[2:3], v[26:27], s[0:1]
	;; [unrolled: 1-line block ×10, first 2 shown]
	v_fma_f64 v[56:57], v[138:139], v[60:61], v[96:97]
	v_fma_f64 v[58:59], v[138:139], v[62:63], -v[68:69]
	v_mul_f64 v[20:21], v[20:21], s[0:1]
	v_mul_f64 v[22:23], v[22:23], s[0:1]
	;; [unrolled: 1-line block ×10, first 2 shown]
	s_waitcnt vmcnt(0) lgkmcnt(0)
	v_mul_f64 v[110:111], v[142:143], v[66:67]
	v_mul_f64 v[114:115], v[142:143], v[64:65]
	s_delay_alu instid0(VALU_DEP_2) | instskip(NEXT) | instid1(VALU_DEP_2)
	v_fma_f64 v[60:61], v[140:141], v[64:65], v[110:111]
	v_fma_f64 v[62:63], v[140:141], v[66:67], -v[114:115]
	v_add_co_u32 v64, vcc_lo, v72, s2
	v_add_co_ci_u32_e32 v65, vcc_lo, s6, v73, vcc_lo
	s_delay_alu instid0(VALU_DEP_2) | instskip(NEXT) | instid1(VALU_DEP_2)
	v_add_co_u32 v66, vcc_lo, v64, s2
	v_add_co_ci_u32_e32 v67, vcc_lo, s6, v65, vcc_lo
	global_store_b128 v[64:65], v[0:3], off
	v_add_co_u32 v68, vcc_lo, v66, s2
	v_add_co_ci_u32_e32 v69, vcc_lo, s6, v67, vcc_lo
	global_store_b128 v[66:67], v[4:7], off
	;; [unrolled: 3-line block ×6, first 2 shown]
	v_add_co_u32 v4, vcc_lo, v2, s2
	v_mul_f64 v[40:41], v[60:61], s[0:1]
	v_mul_f64 v[42:43], v[62:63], s[0:1]
	v_add_co_ci_u32_e32 v5, vcc_lo, s6, v3, vcc_lo
	s_delay_alu instid0(VALU_DEP_4) | instskip(NEXT) | instid1(VALU_DEP_2)
	v_add_co_u32 v6, vcc_lo, v4, s2
	v_add_co_ci_u32_e32 v7, vcc_lo, s6, v5, vcc_lo
	s_delay_alu instid0(VALU_DEP_2) | instskip(NEXT) | instid1(VALU_DEP_2)
	v_add_co_u32 v8, vcc_lo, v6, s2
	v_add_co_ci_u32_e32 v9, vcc_lo, s6, v7, vcc_lo
	s_delay_alu instid0(VALU_DEP_2) | instskip(NEXT) | instid1(VALU_DEP_2)
	v_add_co_u32 v0, vcc_lo, v8, s2
	v_add_co_ci_u32_e32 v1, vcc_lo, s6, v9, vcc_lo
	global_store_b128 v[2:3], v[24:27], off
	global_store_b128 v[4:5], v[28:31], off
	;; [unrolled: 1-line block ×5, first 2 shown]
.LBB0_10:
	s_nop 0
	s_sendmsg sendmsg(MSG_DEALLOC_VGPRS)
	s_endpgm
	.section	.rodata,"a",@progbits
	.p2align	6, 0x0
	.amdhsa_kernel bluestein_single_fwd_len867_dim1_dp_op_CI_CI
		.amdhsa_group_segment_fixed_size 13872
		.amdhsa_private_segment_fixed_size 464
		.amdhsa_kernarg_size 104
		.amdhsa_user_sgpr_count 15
		.amdhsa_user_sgpr_dispatch_ptr 0
		.amdhsa_user_sgpr_queue_ptr 0
		.amdhsa_user_sgpr_kernarg_segment_ptr 1
		.amdhsa_user_sgpr_dispatch_id 0
		.amdhsa_user_sgpr_private_segment_size 0
		.amdhsa_wavefront_size32 1
		.amdhsa_uses_dynamic_stack 0
		.amdhsa_enable_private_segment 1
		.amdhsa_system_sgpr_workgroup_id_x 1
		.amdhsa_system_sgpr_workgroup_id_y 0
		.amdhsa_system_sgpr_workgroup_id_z 0
		.amdhsa_system_sgpr_workgroup_info 0
		.amdhsa_system_vgpr_workitem_id 0
		.amdhsa_next_free_vgpr 256
		.amdhsa_next_free_sgpr 58
		.amdhsa_reserve_vcc 1
		.amdhsa_float_round_mode_32 0
		.amdhsa_float_round_mode_16_64 0
		.amdhsa_float_denorm_mode_32 3
		.amdhsa_float_denorm_mode_16_64 3
		.amdhsa_dx10_clamp 1
		.amdhsa_ieee_mode 1
		.amdhsa_fp16_overflow 0
		.amdhsa_workgroup_processor_mode 1
		.amdhsa_memory_ordered 1
		.amdhsa_forward_progress 0
		.amdhsa_shared_vgpr_count 0
		.amdhsa_exception_fp_ieee_invalid_op 0
		.amdhsa_exception_fp_denorm_src 0
		.amdhsa_exception_fp_ieee_div_zero 0
		.amdhsa_exception_fp_ieee_overflow 0
		.amdhsa_exception_fp_ieee_underflow 0
		.amdhsa_exception_fp_ieee_inexact 0
		.amdhsa_exception_int_div_zero 0
	.end_amdhsa_kernel
	.text
.Lfunc_end0:
	.size	bluestein_single_fwd_len867_dim1_dp_op_CI_CI, .Lfunc_end0-bluestein_single_fwd_len867_dim1_dp_op_CI_CI
                                        ; -- End function
	.section	.AMDGPU.csdata,"",@progbits
; Kernel info:
; codeLenInByte = 37144
; NumSgprs: 60
; NumVgprs: 256
; ScratchSize: 464
; MemoryBound: 0
; FloatMode: 240
; IeeeMode: 1
; LDSByteSize: 13872 bytes/workgroup (compile time only)
; SGPRBlocks: 7
; VGPRBlocks: 31
; NumSGPRsForWavesPerEU: 60
; NumVGPRsForWavesPerEU: 256
; Occupancy: 5
; WaveLimiterHint : 1
; COMPUTE_PGM_RSRC2:SCRATCH_EN: 1
; COMPUTE_PGM_RSRC2:USER_SGPR: 15
; COMPUTE_PGM_RSRC2:TRAP_HANDLER: 0
; COMPUTE_PGM_RSRC2:TGID_X_EN: 1
; COMPUTE_PGM_RSRC2:TGID_Y_EN: 0
; COMPUTE_PGM_RSRC2:TGID_Z_EN: 0
; COMPUTE_PGM_RSRC2:TIDIG_COMP_CNT: 0
	.text
	.p2alignl 7, 3214868480
	.fill 96, 4, 3214868480
	.type	__hip_cuid_13f91a9df4d0713b,@object ; @__hip_cuid_13f91a9df4d0713b
	.section	.bss,"aw",@nobits
	.globl	__hip_cuid_13f91a9df4d0713b
__hip_cuid_13f91a9df4d0713b:
	.byte	0                               ; 0x0
	.size	__hip_cuid_13f91a9df4d0713b, 1

	.ident	"AMD clang version 19.0.0git (https://github.com/RadeonOpenCompute/llvm-project roc-6.4.0 25133 c7fe45cf4b819c5991fe208aaa96edf142730f1d)"
	.section	".note.GNU-stack","",@progbits
	.addrsig
	.addrsig_sym __hip_cuid_13f91a9df4d0713b
	.amdgpu_metadata
---
amdhsa.kernels:
  - .args:
      - .actual_access:  read_only
        .address_space:  global
        .offset:         0
        .size:           8
        .value_kind:     global_buffer
      - .actual_access:  read_only
        .address_space:  global
        .offset:         8
        .size:           8
        .value_kind:     global_buffer
      - .actual_access:  read_only
        .address_space:  global
        .offset:         16
        .size:           8
        .value_kind:     global_buffer
      - .actual_access:  read_only
        .address_space:  global
        .offset:         24
        .size:           8
        .value_kind:     global_buffer
      - .actual_access:  read_only
        .address_space:  global
        .offset:         32
        .size:           8
        .value_kind:     global_buffer
      - .offset:         40
        .size:           8
        .value_kind:     by_value
      - .address_space:  global
        .offset:         48
        .size:           8
        .value_kind:     global_buffer
      - .address_space:  global
        .offset:         56
        .size:           8
        .value_kind:     global_buffer
      - .address_space:  global
        .offset:         64
        .size:           8
        .value_kind:     global_buffer
      - .address_space:  global
        .offset:         72
        .size:           8
        .value_kind:     global_buffer
      - .offset:         80
        .size:           4
        .value_kind:     by_value
      - .address_space:  global
        .offset:         88
        .size:           8
        .value_kind:     global_buffer
      - .address_space:  global
        .offset:         96
        .size:           8
        .value_kind:     global_buffer
    .group_segment_fixed_size: 13872
    .kernarg_segment_align: 8
    .kernarg_segment_size: 104
    .language:       OpenCL C
    .language_version:
      - 2
      - 0
    .max_flat_workgroup_size: 51
    .name:           bluestein_single_fwd_len867_dim1_dp_op_CI_CI
    .private_segment_fixed_size: 464
    .sgpr_count:     60
    .sgpr_spill_count: 0
    .symbol:         bluestein_single_fwd_len867_dim1_dp_op_CI_CI.kd
    .uniform_work_group_size: 1
    .uses_dynamic_stack: false
    .vgpr_count:     256
    .vgpr_spill_count: 123
    .wavefront_size: 32
    .workgroup_processor_mode: 1
amdhsa.target:   amdgcn-amd-amdhsa--gfx1100
amdhsa.version:
  - 1
  - 2
...

	.end_amdgpu_metadata
